;; amdgpu-corpus repo=ROCm/rocFFT kind=compiled arch=gfx950 opt=O3
	.text
	.amdgcn_target "amdgcn-amd-amdhsa--gfx950"
	.amdhsa_code_object_version 6
	.protected	bluestein_single_fwd_len800_dim1_sp_op_CI_CI ; -- Begin function bluestein_single_fwd_len800_dim1_sp_op_CI_CI
	.globl	bluestein_single_fwd_len800_dim1_sp_op_CI_CI
	.p2align	8
	.type	bluestein_single_fwd_len800_dim1_sp_op_CI_CI,@function
bluestein_single_fwd_len800_dim1_sp_op_CI_CI: ; @bluestein_single_fwd_len800_dim1_sp_op_CI_CI
; %bb.0:
	s_load_dwordx4 s[4:7], s[0:1], 0x28
	v_mul_u32_u24_e32 v1, 0x19a, v0
	v_add_u32_sdwa v58, s2, v1 dst_sel:DWORD dst_unused:UNUSED_PAD src0_sel:DWORD src1_sel:WORD_1
	v_mov_b32_e32 v59, 0
	s_waitcnt lgkmcnt(0)
	v_cmp_gt_u64_e32 vcc, s[4:5], v[58:59]
	s_and_saveexec_b64 s[2:3], vcc
	s_cbranch_execz .LBB0_23
; %bb.1:
	s_load_dwordx2 s[12:13], s[0:1], 0x0
	s_load_dwordx2 s[14:15], s[0:1], 0x38
	s_movk_i32 s2, 0xa0
	v_mul_lo_u16_sdwa v1, v1, s2 dst_sel:DWORD dst_unused:UNUSED_PAD src0_sel:WORD_1 src1_sel:DWORD
	v_sub_u16_e32 v59, v0, v1
	v_cmp_gt_u16_e64 s[4:5], 50, v59
	v_lshlrev_b32_e32 v56, 3, v59
	s_and_saveexec_b64 s[2:3], s[4:5]
	s_cbranch_execz .LBB0_3
; %bb.2:
	s_load_dwordx2 s[8:9], s[0:1], 0x18
	v_mov_b32_e32 v0, s6
	v_mov_b32_e32 v1, s7
	;; [unrolled: 1-line block ×4, first 2 shown]
	s_waitcnt lgkmcnt(0)
	s_load_dwordx4 s[8:11], s[8:9], 0x0
	v_lshl_add_u64 v[30:31], s[12:13], 0, v[56:57]
	s_waitcnt lgkmcnt(0)
	v_mad_u64_u32 v[2:3], s[6:7], s10, v58, 0
	v_mad_u64_u32 v[4:5], s[6:7], s8, v59, 0
	v_mov_b32_e32 v6, v3
	v_mov_b32_e32 v8, v5
	v_mad_u64_u32 v[6:7], s[6:7], s11, v58, v[6:7]
	v_mov_b32_e32 v3, v6
	v_mad_u64_u32 v[6:7], s[6:7], s9, v59, v[8:9]
	v_mov_b32_e32 v5, v6
	v_lshl_add_u64 v[0:1], v[2:3], 3, v[0:1]
	v_lshl_add_u64 v[2:3], v[4:5], 3, v[0:1]
	v_mad_u64_u32 v[12:13], s[6:7], s8, v70, v[2:3]
	s_mul_i32 s6, s9, 0x190
	s_nop 0
	v_add_u32_e32 v13, s6, v13
	v_mad_u64_u32 v[14:15], s[10:11], s8, v70, v[12:13]
	v_add_u32_e32 v15, s6, v15
	global_load_dwordx2 v[0:1], v[2:3], off
	global_load_dwordx2 v[8:9], v56, s[12:13]
	global_load_dwordx2 v[4:5], v56, s[12:13] offset:400
	s_nop 0
	global_load_dwordx2 v[2:3], v56, s[12:13] offset:800
	global_load_dwordx2 v[10:11], v[12:13], off
	global_load_dwordx2 v[6:7], v[14:15], off
	v_mad_u64_u32 v[12:13], s[10:11], s8, v70, v[14:15]
	v_add_u32_e32 v13, s6, v13
	global_load_dwordx2 v[14:15], v56, s[12:13] offset:1200
	global_load_dwordx2 v[16:17], v56, s[12:13] offset:1600
	;; [unrolled: 1-line block ×8, first 2 shown]
	global_load_dwordx2 v[32:33], v[12:13], off
	v_mad_u64_u32 v[12:13], s[10:11], s8, v70, v[12:13]
	v_add_u32_e32 v13, s6, v13
	global_load_dwordx2 v[34:35], v[12:13], off
	v_mad_u64_u32 v[12:13], s[10:11], s8, v70, v[12:13]
	v_add_u32_e32 v13, s6, v13
	;; [unrolled: 3-line block ×7, first 2 shown]
	s_movk_i32 s7, 0x1000
	global_load_dwordx2 v[46:47], v[12:13], off
	v_mad_u64_u32 v[12:13], s[10:11], s8, v70, v[12:13]
	v_add_co_u32_e32 v30, vcc, s7, v30
	v_add_u32_e32 v13, s6, v13
	s_nop 0
	v_addc_co_u32_e32 v31, vcc, 0, v31, vcc
	global_load_dwordx2 v[48:49], v[12:13], off
	global_load_dwordx2 v[50:51], v[30:31], off offset:304
	v_mad_u64_u32 v[12:13], s[10:11], s8, v70, v[12:13]
	v_add_u32_e32 v13, s6, v13
	global_load_dwordx2 v[52:53], v[12:13], off
	global_load_dwordx2 v[54:55], v[30:31], off offset:704
	v_mad_u64_u32 v[12:13], s[10:11], s8, v70, v[12:13]
	v_add_u32_e32 v13, s6, v13
	global_load_dwordx2 v[60:61], v[12:13], off
	global_load_dwordx2 v[62:63], v[30:31], off offset:1104
	global_load_dwordx2 v[64:65], v[30:31], off offset:1904
	v_mad_u64_u32 v[12:13], s[10:11], s8, v70, v[12:13]
	v_add_u32_e32 v13, s6, v13
	global_load_dwordx2 v[66:67], v[12:13], off
	global_load_dwordx2 v[68:69], v[30:31], off offset:1504
	v_mad_u64_u32 v[12:13], s[8:9], s8, v70, v[12:13]
	v_add_u32_e32 v13, s6, v13
	global_load_dwordx2 v[12:13], v[12:13], off
	s_waitcnt vmcnt(30)
	v_mul_f32_e32 v30, v0, v9
	v_fma_f32 v31, v1, v8, -v30
	v_mul_f32_e32 v30, v1, v9
	v_fmac_f32_e32 v30, v0, v8
	s_waitcnt vmcnt(27)
	v_mul_f32_e32 v0, v11, v5
	v_mul_f32_e32 v1, v10, v5
	v_fmac_f32_e32 v0, v10, v4
	v_fma_f32 v1, v11, v4, -v1
	ds_write2_b64 v56, v[30:31], v[0:1] offset1:50
	s_waitcnt vmcnt(26)
	v_mul_f32_e32 v0, v7, v3
	v_mul_f32_e32 v1, v6, v3
	v_fmac_f32_e32 v0, v6, v2
	v_fma_f32 v1, v7, v2, -v1
	s_waitcnt vmcnt(17)
	v_mul_f32_e32 v2, v33, v15
	v_mul_f32_e32 v3, v32, v15
	v_fma_f32 v3, v33, v14, -v3
	v_fmac_f32_e32 v2, v32, v14
	ds_write2_b64 v56, v[0:1], v[2:3] offset0:100 offset1:150
	s_waitcnt vmcnt(16)
	v_mul_f32_e32 v0, v35, v17
	v_mul_f32_e32 v1, v34, v17
	s_waitcnt vmcnt(15)
	v_mul_f32_e32 v2, v37, v19
	v_mul_f32_e32 v3, v36, v19
	v_fmac_f32_e32 v0, v34, v16
	v_fma_f32 v1, v35, v16, -v1
	v_fmac_f32_e32 v2, v36, v18
	v_fma_f32 v3, v37, v18, -v3
	ds_write2_b64 v56, v[0:1], v[2:3] offset0:200 offset1:250
	s_waitcnt vmcnt(14)
	v_mul_f32_e32 v0, v39, v21
	v_mul_f32_e32 v1, v38, v21
	s_waitcnt vmcnt(13)
	v_mul_f32_e32 v2, v41, v23
	v_mul_f32_e32 v3, v40, v23
	v_fmac_f32_e32 v0, v38, v20
	v_fma_f32 v1, v39, v20, -v1
	v_fmac_f32_e32 v2, v40, v22
	v_fma_f32 v3, v41, v22, -v3
	v_add_u32_e32 v4, 0x800, v56
	ds_write2_b64 v4, v[0:1], v[2:3] offset0:44 offset1:94
	s_waitcnt vmcnt(12)
	v_mul_f32_e32 v0, v43, v25
	v_mul_f32_e32 v1, v42, v25
	s_waitcnt vmcnt(11)
	v_mul_f32_e32 v2, v45, v27
	v_mul_f32_e32 v3, v44, v27
	v_fmac_f32_e32 v0, v42, v24
	v_fma_f32 v1, v43, v24, -v1
	v_fmac_f32_e32 v2, v44, v26
	v_fma_f32 v3, v45, v26, -v3
	ds_write2_b64 v4, v[0:1], v[2:3] offset0:144 offset1:194
	s_waitcnt vmcnt(10)
	v_mul_f32_e32 v0, v47, v29
	v_mul_f32_e32 v1, v46, v29
	s_waitcnt vmcnt(8)
	v_mul_f32_e32 v2, v49, v51
	v_mul_f32_e32 v3, v48, v51
	v_fmac_f32_e32 v0, v46, v28
	v_fma_f32 v1, v47, v28, -v1
	v_fmac_f32_e32 v2, v48, v50
	v_fma_f32 v3, v49, v50, -v3
	v_add_u32_e32 v4, 0xc00, v56
	ds_write2_b64 v4, v[0:1], v[2:3] offset0:116 offset1:166
	s_waitcnt vmcnt(6)
	v_mul_f32_e32 v0, v53, v55
	v_mul_f32_e32 v1, v52, v55
	s_waitcnt vmcnt(4)
	v_mul_f32_e32 v2, v61, v63
	v_mul_f32_e32 v3, v60, v63
	v_fmac_f32_e32 v0, v52, v54
	v_fma_f32 v1, v53, v54, -v1
	v_fmac_f32_e32 v2, v60, v62
	v_fma_f32 v3, v61, v62, -v3
	v_add_u32_e32 v4, 0x1000, v56
	ds_write2_b64 v4, v[0:1], v[2:3] offset0:88 offset1:138
	s_waitcnt vmcnt(1)
	v_mul_f32_e32 v0, v67, v69
	v_mul_f32_e32 v1, v66, v69
	s_waitcnt vmcnt(0)
	v_mul_f32_e32 v2, v13, v65
	v_mul_f32_e32 v3, v12, v65
	v_fmac_f32_e32 v0, v66, v68
	v_fma_f32 v1, v67, v68, -v1
	v_fmac_f32_e32 v2, v12, v64
	v_fma_f32 v3, v13, v64, -v3
	ds_write2_b64 v4, v[0:1], v[2:3] offset0:188 offset1:238
.LBB0_3:
	s_or_b64 exec, exec, s[2:3]
	s_load_dwordx2 s[2:3], s[0:1], 0x20
	s_load_dwordx2 s[6:7], s[0:1], 0x8
	s_waitcnt lgkmcnt(0)
	s_barrier
	s_waitcnt lgkmcnt(0)
                                        ; implicit-def: $vgpr16
                                        ; implicit-def: $vgpr22
                                        ; implicit-def: $vgpr0
                                        ; implicit-def: $vgpr8
                                        ; implicit-def: $vgpr20
                                        ; implicit-def: $vgpr24
                                        ; implicit-def: $vgpr4
                                        ; implicit-def: $vgpr12
                                        ; implicit-def: $vgpr18
                                        ; implicit-def: $vgpr28
                                        ; implicit-def: $vgpr26
                                        ; implicit-def: $vgpr30
	s_and_saveexec_b64 s[0:1], s[4:5]
	s_cbranch_execz .LBB0_5
; %bb.4:
	v_add_u32_e32 v8, 0x800, v56
	v_add_u32_e32 v12, 0xc00, v56
	;; [unrolled: 1-line block ×3, first 2 shown]
	ds_read2_b64 v[0:3], v56 offset1:50
	ds_read2_b64 v[4:7], v56 offset0:100 offset1:150
	ds_read2_b64 v[24:27], v56 offset0:200 offset1:250
	;; [unrolled: 1-line block ×7, first 2 shown]
	s_waitcnt lgkmcnt(7)
	v_mov_b32_e32 v16, v0
	s_waitcnt lgkmcnt(5)
	v_mov_b32_e32 v17, v24
	;; [unrolled: 2-line block ×4, first 2 shown]
	v_mov_b32_e32 v0, v25
	v_mov_b32_e32 v8, v35
	;; [unrolled: 1-line block ×5, first 2 shown]
	s_waitcnt lgkmcnt(0)
	v_mov_b32_e32 v25, v38
	v_mov_b32_e32 v4, v31
	;; [unrolled: 1-line block ×15, first 2 shown]
.LBB0_5:
	s_or_b64 exec, exec, s[0:1]
	v_pk_add_f32 v[24:25], v[20:21], v[24:25] neg_lo:[0,1] neg_hi:[0,1]
	v_pk_add_f32 v[30:31], v[26:27], v[30:31] neg_lo:[0,1] neg_hi:[0,1]
	;; [unrolled: 1-line block ×3, first 2 shown]
	v_mov_b32_e32 v12, v20
	v_mov_b32_e32 v13, v26
	;; [unrolled: 1-line block ×4, first 2 shown]
	v_pk_fma_f32 v[34:35], v[12:13], 2.0, v[34:35] op_sel_hi:[1,0,1] neg_lo:[0,0,1] neg_hi:[0,0,1]
	v_mov_b32_e32 v26, v21
	v_mov_b32_e32 v12, v25
	;; [unrolled: 1-line block ×3, first 2 shown]
	v_pk_add_f32 v[14:15], v[6:7], v[14:15] neg_lo:[0,1] neg_hi:[0,1]
	v_pk_fma_f32 v[12:13], v[26:27], 2.0, v[12:13] op_sel_hi:[1,0,1] neg_lo:[0,0,1] neg_hi:[0,0,1]
	v_mov_b32_e32 v26, v15
	v_pk_add_f32 v[20:21], v[34:35], v[12:13] neg_lo:[0,1] neg_hi:[0,1]
	v_mov_b32_e32 v12, v7
	v_mov_b32_e32 v13, v5
	;; [unrolled: 1-line block ×6, first 2 shown]
	v_pk_add_f32 v[22:23], v[16:17], v[22:23] neg_lo:[0,1] neg_hi:[0,1]
	v_pk_add_f32 v[8:9], v[0:1], v[8:9] neg_lo:[0,1] neg_hi:[0,1]
	v_pk_fma_f32 v[26:27], v[12:13], 2.0, v[26:27] op_sel_hi:[1,0,1] neg_lo:[0,0,1] neg_hi:[0,0,1]
	v_pk_fma_f32 v[4:5], v[6:7], 2.0, v[4:5] op_sel_hi:[1,0,1] neg_lo:[0,0,1] neg_hi:[0,0,1]
	v_mov_b32_e32 v36, v22
	v_pk_add_f32 v[6:7], v[26:27], v[4:5] neg_lo:[0,1] neg_hi:[0,1]
	v_mov_b32_e32 v4, v16
	v_mov_b32_e32 v5, v1
	;; [unrolled: 1-line block ×3, first 2 shown]
	v_pk_add_f32 v[28:29], v[18:19], v[28:29] neg_lo:[0,1] neg_hi:[0,1]
	v_pk_add_f32 v[10:11], v[2:3], v[10:11] neg_lo:[0,1] neg_hi:[0,1]
	v_pk_fma_f32 v[40:41], v[4:5], 2.0, v[36:37] op_sel_hi:[1,0,1] neg_lo:[0,0,1] neg_hi:[0,0,1]
	v_mov_b32_e32 v4, v17
	v_mov_b32_e32 v5, v0
	;; [unrolled: 1-line block ×4, first 2 shown]
	v_pk_fma_f32 v[0:1], v[4:5], 2.0, v[0:1] op_sel_hi:[1,0,1] neg_lo:[0,0,1] neg_hi:[0,0,1]
	v_mov_b32_e32 v4, v18
	v_mov_b32_e32 v5, v3
	;; [unrolled: 1-line block ×8, first 2 shown]
	v_pk_fma_f32 v[4:5], v[4:5], 2.0, v[16:17] op_sel_hi:[1,0,1] neg_lo:[0,0,1] neg_hi:[0,0,1]
	v_pk_fma_f32 v[2:3], v[12:13], 2.0, v[2:3] op_sel_hi:[1,0,1] neg_lo:[0,0,1] neg_hi:[0,0,1]
	v_pk_add_f32 v[18:19], v[40:41], v[0:1] neg_lo:[0,1] neg_hi:[0,1]
	v_pk_add_f32 v[42:43], v[4:5], v[2:3] neg_lo:[0,1] neg_hi:[0,1]
	v_mov_b32_e32 v1, v20
	v_mov_b32_e32 v2, v7
	;; [unrolled: 1-line block ×3, first 2 shown]
	v_pk_add_f32 v[46:47], v[18:19], v[2:3] neg_lo:[0,1] neg_hi:[0,1]
	v_pk_add_f32 v[0:1], v[0:1], v[18:19]
	v_pk_add_f32 v[48:49], v[42:43], v[6:7] neg_lo:[0,1] neg_hi:[0,1]
	v_pk_add_f32 v[2:3], v[20:21], v[42:43]
	v_mov_b32_e32 v47, v1
	v_mov_b32_e32 v49, v3
	v_pk_fma_f32 v[0:1], v[18:19], 2.0, v[46:47] op_sel_hi:[1,0,1] neg_lo:[0,0,1] neg_hi:[0,0,1]
	v_pk_fma_f32 v[2:3], v[42:43], 2.0, v[48:49] op_sel_hi:[1,0,1] neg_lo:[0,0,1] neg_hi:[0,0,1]
	s_mov_b32 s0, 0x3f3504f3
	v_mov_b32_e32 v44, v40
	v_mov_b32_e32 v45, v4
	;; [unrolled: 1-line block ×3, first 2 shown]
	v_pk_mul_f32 v[4:5], v[2:3], s[0:1] op_sel_hi:[1,0]
	v_pk_fma_f32 v[2:3], v[2:3], s[0:1], v[0:1] op_sel_hi:[1,0,1] neg_lo:[1,0,0] neg_hi:[1,0,0]
	s_mov_b32 s8, 0x3f6c835e
	v_pk_add_f32 v[12:13], v[2:3], v[4:5] op_sel:[0,1] op_sel_hi:[1,0] neg_lo:[0,1] neg_hi:[0,1]
	v_pk_add_f32 v[2:3], v[2:3], v[4:5] op_sel:[0,1] op_sel_hi:[1,0]
	v_pk_add_f32 v[4:5], v[22:23], v[8:9] neg_lo:[0,1] neg_hi:[0,1]
	v_mov_b32_e32 v13, v3
	v_pk_add_f32 v[2:3], v[22:23], v[8:9]
	v_pk_add_f32 v[8:9], v[24:25], v[32:33] neg_lo:[0,1] neg_hi:[0,1]
	v_mov_b32_e32 v5, v3
	v_pk_add_f32 v[2:3], v[24:25], v[32:33]
	;; [unrolled: 3-line block ×4, first 2 shown]
	v_pk_fma_f32 v[28:29], v[8:9], s[0:1], v[4:5] op_sel_hi:[1,0,1]
	v_mov_b32_e32 v11, v3
	v_pk_mul_f32 v[2:3], v[8:9], s[0:1] op_sel_hi:[1,0]
	v_pk_fma_f32 v[38:39], v[10:11], s[0:1], v[22:23] op_sel_hi:[1,0,1]
	v_pk_add_f32 v[50:51], v[28:29], v[2:3] op_sel:[0,1] op_sel_hi:[1,0] neg_lo:[0,1] neg_hi:[0,1]
	v_pk_add_f32 v[2:3], v[28:29], v[2:3] op_sel:[0,1] op_sel_hi:[1,0]
	v_pk_mul_f32 v[28:29], v[10:11], s[0:1] op_sel_hi:[1,0]
	v_mov_b32_e32 v51, v3
	v_mov_b32_e32 v25, v33
	v_pk_fma_f32 v[2:3], v[4:5], 2.0, v[50:51] op_sel_hi:[1,0,1] neg_lo:[0,0,1] neg_hi:[0,0,1]
	v_pk_add_f32 v[52:53], v[38:39], v[28:29] op_sel:[0,1] op_sel_hi:[1,0] neg_lo:[0,1] neg_hi:[0,1]
	v_pk_add_f32 v[28:29], v[38:39], v[28:29] op_sel:[0,1] op_sel_hi:[1,0]
	v_mov_b32_e32 v31, v15
	v_pk_fma_f32 v[4:5], v[36:37], 2.0, v[4:5] op_sel_hi:[1,0,1] neg_lo:[0,0,1] neg_hi:[0,0,1]
	v_pk_fma_f32 v[8:9], v[24:25], 2.0, v[8:9] op_sel_hi:[1,0,1] neg_lo:[0,0,1] neg_hi:[0,0,1]
	v_mov_b32_e32 v53, v29
	v_pk_fma_f32 v[14:15], v[16:17], 2.0, v[22:23] op_sel_hi:[1,0,1] neg_lo:[0,0,1] neg_hi:[0,0,1]
	v_pk_fma_f32 v[10:11], v[30:31], 2.0, v[10:11] op_sel_hi:[1,0,1] neg_lo:[0,0,1] neg_hi:[0,0,1]
	v_pk_mul_f32 v[16:17], v[8:9], s[0:1] op_sel_hi:[1,0]
	v_pk_fma_f32 v[8:9], v[8:9], s[0:1], v[4:5] op_sel_hi:[1,0,1] neg_lo:[1,0,0] neg_hi:[1,0,0]
	v_pk_fma_f32 v[28:29], v[22:23], 2.0, v[52:53] op_sel_hi:[1,0,1] neg_lo:[0,0,1] neg_hi:[0,0,1]
	v_pk_add_f32 v[22:23], v[8:9], v[16:17] op_sel:[0,1] op_sel_hi:[1,0]
	v_pk_add_f32 v[16:17], v[8:9], v[16:17] op_sel:[0,1] op_sel_hi:[1,0] neg_lo:[0,1] neg_hi:[0,1]
	v_pk_mul_f32 v[8:9], v[10:11], s[0:1] op_sel_hi:[1,0]
	v_pk_fma_f32 v[10:11], v[10:11], s[0:1], v[14:15] op_sel_hi:[1,0,1] neg_lo:[1,0,0] neg_hi:[1,0,0]
	v_mov_b32_e32 v17, v23
	v_pk_add_f32 v[22:23], v[10:11], v[8:9] op_sel:[0,1] op_sel_hi:[1,0]
	v_pk_add_f32 v[10:11], v[10:11], v[8:9] op_sel:[0,1] op_sel_hi:[1,0] neg_lo:[0,1] neg_hi:[0,1]
	v_pk_fma_f32 v[4:5], v[4:5], 2.0, v[16:17] op_sel_hi:[1,0,1] neg_lo:[0,0,1] neg_hi:[0,0,1]
	v_mov_b32_e32 v11, v23
	v_pk_fma_f32 v[8:9], v[14:15], 2.0, v[10:11] op_sel_hi:[1,0,1] neg_lo:[0,0,1] neg_hi:[0,0,1]
	s_mov_b32 s10, 0x3ec3ef15
	v_pk_fma_f32 v[14:15], v[8:9], s[8:9], v[4:5] op_sel_hi:[1,0,1] neg_lo:[1,0,0] neg_hi:[1,0,0]
	v_pk_mul_f32 v[8:9], v[8:9], s[10:11] op_sel_hi:[1,0]
	v_pk_fma_f32 v[6:7], v[26:27], 2.0, v[6:7] op_sel_hi:[1,0,1] neg_lo:[0,0,1] neg_hi:[0,0,1]
	v_pk_add_f32 v[22:23], v[14:15], v[8:9] op_sel:[0,1] op_sel_hi:[1,0]
	v_pk_add_f32 v[38:39], v[14:15], v[8:9] op_sel:[0,1] op_sel_hi:[1,0] neg_lo:[0,1] neg_hi:[0,1]
	v_pk_fma_f32 v[8:9], v[28:29], s[10:11], v[2:3] op_sel_hi:[1,0,1] neg_lo:[1,0,0] neg_hi:[1,0,0]
	v_mov_b32_e32 v39, v23
	v_pk_mul_f32 v[22:23], v[28:29], s[8:9] op_sel_hi:[1,0]
	v_lshlrev_b16_e32 v84, 4, v59
	v_pk_add_f32 v[14:15], v[8:9], v[22:23] op_sel:[0,1] op_sel_hi:[1,0] neg_lo:[0,1] neg_hi:[0,1]
	v_pk_add_f32 v[8:9], v[8:9], v[22:23] op_sel:[0,1] op_sel_hi:[1,0]
	s_nop 0
	v_mov_b32_e32 v15, v9
	v_mov_b32_e32 v8, v18
	;; [unrolled: 1-line block ×4, first 2 shown]
	v_pk_fma_f32 v[22:23], v[44:45], 2.0, v[8:9] op_sel_hi:[1,0,1] neg_lo:[0,0,1] neg_hi:[0,0,1]
	v_pk_fma_f32 v[18:19], v[40:41], 2.0, v[18:19] op_sel_hi:[1,0,1] neg_lo:[0,0,1] neg_hi:[0,0,1]
	;; [unrolled: 1-line block ×3, first 2 shown]
	v_pk_add_f32 v[24:25], v[18:19], v[6:7] neg_lo:[0,1] neg_hi:[0,1]
	v_pk_add_f32 v[20:21], v[22:23], v[8:9] neg_lo:[0,1] neg_hi:[0,1]
	v_mov_b32_e32 v8, v22
	v_mov_b32_e32 v9, v19
	;; [unrolled: 1-line block ×8, first 2 shown]
	v_pk_fma_f32 v[8:9], v[8:9], 2.0, v[6:7] op_sel_hi:[1,0,1] neg_lo:[0,0,1] neg_hi:[0,0,1]
	v_pk_fma_f32 v[18:19], v[22:23], 2.0, v[18:19] op_sel_hi:[1,0,1] neg_lo:[0,0,1] neg_hi:[0,0,1]
	v_pk_add_f32 v[28:29], v[20:21], v[24:25] neg_lo:[0,1] neg_hi:[0,1]
	v_pk_add_f32 v[36:37], v[8:9], v[18:19] neg_lo:[0,1] neg_hi:[0,1]
	v_pk_add_f32 v[18:19], v[20:21], v[24:25]
	s_barrier
	v_mov_b32_e32 v29, v19
	v_pk_fma_f32 v[18:19], v[10:11], s[10:11], v[16:17] op_sel_hi:[1,0,1]
	v_pk_mul_f32 v[10:11], v[10:11], s[8:9] op_sel_hi:[1,0]
	s_nop 0
	v_pk_add_f32 v[30:31], v[18:19], v[10:11] op_sel:[0,1] op_sel_hi:[1,0] neg_lo:[0,1] neg_hi:[0,1]
	v_pk_add_f32 v[10:11], v[18:19], v[10:11] op_sel:[0,1] op_sel_hi:[1,0]
	s_nop 0
	v_mov_b32_e32 v31, v11
	v_pk_fma_f32 v[42:43], v[16:17], 2.0, v[30:31] op_sel_hi:[1,0,1] neg_lo:[0,0,1] neg_hi:[0,0,1]
	v_pk_mul_f32 v[10:11], v[48:49], s[0:1] op_sel_hi:[1,0]
	v_pk_fma_f32 v[16:17], v[48:49], s[0:1], v[46:47] op_sel_hi:[1,0,1]
	s_nop 0
	v_pk_add_f32 v[32:33], v[16:17], v[10:11] op_sel:[0,1] op_sel_hi:[1,0] neg_lo:[0,1] neg_hi:[0,1]
	v_pk_add_f32 v[10:11], v[16:17], v[10:11] op_sel:[0,1] op_sel_hi:[1,0]
	v_pk_mul_f32 v[16:17], v[52:53], s[10:11] op_sel_hi:[1,0]
	v_mov_b32_e32 v33, v11
	v_pk_fma_f32 v[10:11], v[52:53], s[8:9], v[50:51] op_sel_hi:[1,0,1]
	v_pk_fma_f32 v[44:45], v[46:47], 2.0, v[32:33] op_sel_hi:[1,0,1] neg_lo:[0,0,1] neg_hi:[0,0,1]
	v_pk_add_f32 v[34:35], v[10:11], v[16:17] op_sel:[0,1] op_sel_hi:[1,0] neg_lo:[0,1] neg_hi:[0,1]
	v_pk_add_f32 v[10:11], v[10:11], v[16:17] op_sel:[0,1] op_sel_hi:[1,0]
	s_nop 0
	v_mov_b32_e32 v35, v11
	v_pk_fma_f32 v[46:47], v[50:51], 2.0, v[34:35] op_sel_hi:[1,0,1] neg_lo:[0,0,1] neg_hi:[0,0,1]
	s_and_saveexec_b64 s[0:1], s[4:5]
	s_cbranch_execz .LBB0_7
; %bb.6:
	v_lshlrev_b32_e32 v16, 3, v84
	v_pk_fma_f32 v[8:9], v[8:9], 2.0, v[36:37] op_sel_hi:[1,0,1] neg_lo:[0,0,1] neg_hi:[0,0,1]
	v_pk_fma_f32 v[10:11], v[4:5], 2.0, v[38:39] op_sel_hi:[1,0,1] neg_lo:[0,0,1] neg_hi:[0,0,1]
	;; [unrolled: 1-line block ×5, first 2 shown]
	ds_write_b128 v16, v[8:11]
	ds_write_b128 v16, v[0:3] offset:16
	ds_write_b128 v16, v[40:43] offset:32
	;; [unrolled: 1-line block ×7, first 2 shown]
.LBB0_7:
	s_or_b64 exec, exec, s[0:1]
	v_and_b32_e32 v9, 15, v59
	v_lshlrev_b32_e32 v8, 5, v9
	s_load_dwordx4 s[8:11], s[2:3], 0x0
	s_waitcnt lgkmcnt(0)
	s_barrier
	global_load_dwordx4 v[0:3], v8, s[6:7]
	global_load_dwordx4 v[4:7], v8, s[6:7] offset:16
	v_add_u32_e32 v8, 0x800, v56
	ds_read2_b64 v[16:19], v56 offset1:160
	ds_read2_b64 v[20:23], v8 offset0:64 offset1:224
	ds_read_b64 v[10:11], v56 offset:5120
	v_lshrrev_b32_e32 v24, 4, v59
	v_mul_u32_u24_e32 v24, 0x50, v24
	v_or_b32_e32 v9, v24, v9
	s_mov_b32 s0, 0x3f737871
	s_movk_i32 s1, 0x50
	s_mov_b32 s18, 0x3f167918
	s_mov_b32 s16, 0x3e9e377a
	v_lshlrev_b32_e32 v85, 3, v9
	v_cmp_gt_u16_e64 s[2:3], s1, v59
	s_waitcnt lgkmcnt(0)
	s_barrier
	s_waitcnt vmcnt(1)
	v_pk_mul_f32 v[24:25], v[18:19], v[0:1] op_sel:[0,1]
	v_mov_b32_e32 v26, v3
	s_waitcnt vmcnt(0)
	v_pk_mul_f32 v[40:41], v[22:23], v[4:5] op_sel:[0,1]
	v_mov_b32_e32 v48, v7
	v_pk_fma_f32 v[50:51], v[18:19], v[0:1], v[24:25] op_sel:[0,0,1] op_sel_hi:[1,1,0] neg_lo:[0,0,1] neg_hi:[0,0,1]
	v_pk_fma_f32 v[18:19], v[18:19], v[0:1], v[24:25] op_sel:[0,0,1] op_sel_hi:[1,0,0]
	v_pk_mul_f32 v[24:25], v[20:21], v[26:27] op_sel_hi:[1,0]
	v_pk_fma_f32 v[26:27], v[22:23], v[4:5], v[40:41] op_sel:[0,0,1] op_sel_hi:[1,1,0] neg_lo:[0,0,1] neg_hi:[0,0,1]
	v_pk_fma_f32 v[22:23], v[22:23], v[4:5], v[40:41] op_sel:[0,0,1] op_sel_hi:[1,0,0]
	v_pk_mul_f32 v[40:41], v[10:11], v[48:49] op_sel_hi:[1,0]
	v_mov_b32_e32 v51, v19
	v_pk_fma_f32 v[18:19], v[20:21], v[2:3], v[24:25] op_sel:[0,0,1] op_sel_hi:[1,1,0] neg_lo:[0,0,1] neg_hi:[0,0,1]
	v_pk_fma_f32 v[20:21], v[20:21], v[2:3], v[24:25] op_sel:[0,0,1] op_sel_hi:[1,0,0]
	v_mov_b32_e32 v27, v23
	v_pk_fma_f32 v[22:23], v[10:11], v[6:7], v[40:41] op_sel:[0,0,1] op_sel_hi:[1,1,0] neg_lo:[0,0,1] neg_hi:[0,0,1]
	v_pk_fma_f32 v[10:11], v[10:11], v[6:7], v[40:41] op_sel:[0,0,1] op_sel_hi:[1,0,0]
	v_mov_b32_e32 v19, v21
	v_mov_b32_e32 v23, v11
	v_pk_add_f32 v[10:11], v[16:17], v[50:51]
	v_pk_add_f32 v[20:21], v[18:19], v[26:27]
	;; [unrolled: 1-line block ×4, first 2 shown]
	v_pk_add_f32 v[24:25], v[50:51], v[22:23] neg_lo:[0,1] neg_hi:[0,1]
	v_pk_add_f32 v[40:41], v[18:19], v[26:27] neg_lo:[0,1] neg_hi:[0,1]
	;; [unrolled: 1-line block ×4, first 2 shown]
	v_pk_fma_f32 v[20:21], v[20:21], 0.5, v[16:17] op_sel_hi:[1,0,1] neg_lo:[1,0,0] neg_hi:[1,0,0]
	v_pk_add_f32 v[10:11], v[10:11], v[26:27]
	v_pk_fma_f32 v[16:17], v[54:55], 0.5, v[16:17] op_sel_hi:[1,0,1] neg_lo:[1,0,0] neg_hi:[1,0,0]
	v_pk_add_f32 v[18:19], v[18:19], v[50:51] neg_lo:[0,1] neg_hi:[0,1]
	v_pk_add_f32 v[50:51], v[26:27], v[22:23] neg_lo:[0,1] neg_hi:[0,1]
	v_pk_add_f32 v[52:53], v[48:49], v[52:53]
	v_pk_add_f32 v[48:49], v[10:11], v[22:23]
	v_pk_fma_f32 v[10:11], v[24:25], s[0:1], v[20:21] op_sel:[1,0,0] op_sel_hi:[0,0,1]
	v_pk_fma_f32 v[20:21], v[24:25], s[0:1], v[20:21] op_sel:[1,0,0] op_sel_hi:[0,0,1] neg_lo:[1,0,0] neg_hi:[1,0,0]
	v_pk_fma_f32 v[22:23], v[40:41], s[0:1], v[16:17] op_sel:[1,0,0] op_sel_hi:[0,0,1] neg_lo:[1,0,0] neg_hi:[1,0,0]
	v_pk_fma_f32 v[16:17], v[40:41], s[0:1], v[16:17] op_sel:[1,0,0] op_sel_hi:[0,0,1]
	v_pk_fma_f32 v[20:21], v[40:41], s[18:19], v[20:21] op_sel:[1,0,0] op_sel_hi:[0,0,1] neg_lo:[1,0,0] neg_hi:[1,0,0]
	v_pk_fma_f32 v[10:11], v[40:41], s[18:19], v[10:11] op_sel:[1,0,0] op_sel_hi:[0,0,1]
	;; [unrolled: 2-line block ×3, first 2 shown]
	v_pk_add_f32 v[18:19], v[18:19], v[50:51]
	v_mov_b32_e32 v24, v10
	v_mov_b32_e32 v25, v21
	;; [unrolled: 1-line block ×6, first 2 shown]
	v_pk_fma_f32 v[50:51], v[52:53], s[16:17], v[24:25] op_sel_hi:[1,0,1]
	v_pk_fma_f32 v[40:41], v[52:53], s[16:17], v[20:21] op_sel_hi:[1,0,1]
	;; [unrolled: 1-line block ×4, first 2 shown]
	ds_write2_b64 v85, v[48:49], v[50:51] offset1:16
	ds_write2_b64 v85, v[52:53], v[54:55] offset0:32 offset1:48
	ds_write_b64 v85, v[40:41] offset:512
	s_waitcnt lgkmcnt(0)
	s_barrier
	s_and_saveexec_b64 s[20:21], s[2:3]
	s_cbranch_execz .LBB0_9
; %bb.8:
	ds_read2_b64 v[48:51], v56 offset1:80
	ds_read2_b64 v[52:55], v56 offset0:160 offset1:240
	ds_read2_b64 v[40:43], v8 offset0:64 offset1:144
	v_add_u32_e32 v8, 0xc00, v56
	ds_read2_b64 v[44:47], v8 offset0:96 offset1:176
	v_add_u32_e32 v8, 0x1000, v56
	ds_read2_b64 v[36:39], v8 offset0:128 offset1:208
.LBB0_9:
	s_or_b64 exec, exec, s[20:21]
	v_add_u32_e32 v8, 0xffffffb0, v59
	v_cndmask_b32_e64 v8, v8, v59, s[2:3]
	v_mul_hi_i32_i24_e32 v9, 0x48, v8
	v_mul_i32_i24_e32 v8, 0x48, v8
	v_lshl_add_u64 v[62:63], s[6:7], 0, v[8:9]
	global_load_dwordx4 v[8:11], v[62:63], off offset:512
	global_load_dwordx4 v[24:27], v[62:63], off offset:528
	;; [unrolled: 1-line block ×4, first 2 shown]
	global_load_dwordx2 v[60:61], v[62:63], off offset:576
	s_waitcnt lgkmcnt(3)
	v_mov_b32_e32 v62, v53
	s_waitcnt lgkmcnt(2)
	v_mov_b32_e32 v64, v41
	;; [unrolled: 2-line block ×4, first 2 shown]
	s_mov_b32 s20, 0xbf167918
	s_mov_b32 s21, s18
	s_mov_b32 s6, 0xbf737871
	s_mov_b32 s7, s0
	s_waitcnt vmcnt(4)
	v_pk_mul_f32 v[70:71], v[52:53], v[10:11]
	s_waitcnt vmcnt(3)
	v_pk_mul_f32 v[72:73], v[40:41], v[26:27]
	;; [unrolled: 2-line block ×3, first 2 shown]
	v_pk_mul_f32 v[76:77], v[54:55], v[24:25] op_sel:[0,1]
	v_pk_mul_f32 v[78:79], v[42:43], v[20:21] op_sel:[0,1]
	s_waitcnt vmcnt(1)
	v_pk_mul_f32 v[80:81], v[46:47], v[16:17] op_sel:[0,1]
	v_pk_mul_f32 v[82:83], v[36:37], v[18:19]
	v_mov_b32_e32 v70, v11
	v_mov_b32_e32 v72, v27
	;; [unrolled: 1-line block ×4, first 2 shown]
	s_waitcnt vmcnt(0)
	v_pk_mul_f32 v[86:87], v[38:39], v[60:61] op_sel:[0,1]
	v_pk_fma_f32 v[92:93], v[54:55], v[24:25], v[76:77] op_sel:[0,0,1] op_sel_hi:[1,1,0] neg_lo:[0,0,1] neg_hi:[0,0,1]
	v_pk_fma_f32 v[54:55], v[54:55], v[24:25], v[76:77] op_sel:[0,0,1] op_sel_hi:[1,0,0]
	v_pk_fma_f32 v[76:77], v[42:43], v[20:21], v[78:79] op_sel:[0,0,1] op_sel_hi:[1,1,0] neg_lo:[0,0,1] neg_hi:[0,0,1]
	v_pk_fma_f32 v[42:43], v[42:43], v[20:21], v[78:79] op_sel:[0,0,1] op_sel_hi:[1,0,0]
	v_pk_fma_f32 v[78:79], v[46:47], v[16:17], v[80:81] op_sel:[0,0,1] op_sel_hi:[1,1,0] neg_lo:[0,0,1] neg_hi:[0,0,1]
	v_pk_fma_f32 v[46:47], v[46:47], v[16:17], v[80:81] op_sel:[0,0,1] op_sel_hi:[1,0,0]
	v_pk_mul_f32 v[88:89], v[50:51], v[8:9] op_sel:[0,1]
	v_mov_b32_e32 v90, v71
	v_pk_mul_f32 v[70:71], v[52:53], v[70:71]
	v_mov_b32_e32 v54, v73
	v_pk_mul_f32 v[72:73], v[40:41], v[72:73]
	;; [unrolled: 2-line block ×4, first 2 shown]
	v_pk_fma_f32 v[82:83], v[38:39], v[60:61], v[86:87] op_sel:[0,0,1] op_sel_hi:[1,1,0] neg_lo:[0,0,1] neg_hi:[0,0,1]
	v_pk_fma_f32 v[38:39], v[38:39], v[60:61], v[86:87] op_sel:[0,0,1] op_sel_hi:[1,0,0]
	v_pk_fma_f32 v[86:87], v[50:51], v[8:9], v[88:89] op_sel:[0,0,1] op_sel_hi:[1,1,0] neg_lo:[0,0,1] neg_hi:[0,0,1]
	v_pk_fma_f32 v[50:51], v[50:51], v[8:9], v[88:89] op_sel:[0,0,1] op_sel_hi:[1,0,0]
	v_pk_fma_f32 v[52:53], v[52:53], v[10:11], v[90:91] neg_lo:[0,0,1] neg_hi:[0,0,1]
	v_pk_fma_f32 v[40:41], v[40:41], v[26:27], v[54:55] neg_lo:[0,0,1] neg_hi:[0,0,1]
	;; [unrolled: 1-line block ×4, first 2 shown]
	v_pk_fma_f32 v[62:63], v[62:63], v[10:11], v[70:71]
	v_pk_fma_f32 v[64:65], v[64:65], v[26:27], v[72:73]
	;; [unrolled: 1-line block ×4, first 2 shown]
	v_mov_b32_e32 v93, v55
	v_mov_b32_e32 v77, v43
	;; [unrolled: 1-line block ×5, first 2 shown]
	v_pk_add_f32 v[38:39], v[40:41], v[52:53] neg_lo:[0,1] neg_hi:[0,1]
	v_pk_add_f32 v[42:43], v[44:45], v[36:37] neg_lo:[0,1] neg_hi:[0,1]
	;; [unrolled: 1-line block ×6, first 2 shown]
	v_pk_add_f32 v[80:81], v[76:77], v[78:79]
	v_pk_add_f32 v[88:89], v[92:93], v[82:83]
	v_pk_add_f32 v[72:73], v[76:77], v[92:93] neg_lo:[0,1] neg_hi:[0,1]
	v_pk_add_f32 v[74:75], v[78:79], v[82:83] neg_lo:[0,1] neg_hi:[0,1]
	v_pk_add_f32 v[90:91], v[86:87], v[92:93]
	v_pk_add_f32 v[92:93], v[92:93], v[82:83] neg_lo:[0,1] neg_hi:[0,1]
	v_pk_add_f32 v[94:95], v[76:77], v[78:79] neg_lo:[0,1] neg_hi:[0,1]
	v_pk_add_f32 v[38:39], v[38:39], v[42:43]
	v_pk_add_f32 v[42:43], v[46:47], v[50:51]
	;; [unrolled: 1-line block ×3, first 2 shown]
	v_pk_fma_f32 v[54:55], v[80:81], 0.5, v[86:87] op_sel_hi:[1,0,1] neg_lo:[1,0,0] neg_hi:[1,0,0]
	v_pk_fma_f32 v[70:71], v[88:89], 0.5, v[86:87] op_sel_hi:[1,0,1] neg_lo:[1,0,0] neg_hi:[1,0,0]
	v_pk_add_f32 v[50:51], v[72:73], v[74:75]
	v_pk_add_f32 v[72:73], v[90:91], v[76:77]
	v_pk_fma_f32 v[74:75], v[92:93], s[0:1], v[54:55] op_sel:[1,0,0] op_sel_hi:[0,0,1] neg_lo:[1,0,0] neg_hi:[1,0,0]
	v_pk_fma_f32 v[54:55], v[92:93], s[0:1], v[54:55] op_sel:[1,0,0] op_sel_hi:[0,0,1]
	v_pk_fma_f32 v[76:77], v[94:95], s[0:1], v[70:71] op_sel:[1,0,0] op_sel_hi:[0,0,1]
	v_pk_fma_f32 v[70:71], v[94:95], s[0:1], v[70:71] op_sel:[1,0,0] op_sel_hi:[0,0,1] neg_lo:[1,0,0] neg_hi:[1,0,0]
	v_add_f32_e32 v37, v40, v44
	v_mov_b32_e32 v39, v42
	v_sub_f32_e32 v42, v36, v44
	v_sub_f32_e32 v43, v52, v40
	v_pk_fma_f32 v[74:75], v[94:95], s[18:19], v[74:75] op_sel:[1,0,0] op_sel_hi:[0,0,1] neg_lo:[1,0,0] neg_hi:[1,0,0]
	v_pk_fma_f32 v[54:55], v[94:95], s[18:19], v[54:55] op_sel:[1,0,0] op_sel_hi:[0,0,1]
	v_pk_fma_f32 v[76:77], v[92:93], s[18:19], v[76:77] op_sel:[1,0,0] op_sel_hi:[0,0,1] neg_lo:[1,0,0] neg_hi:[1,0,0]
	v_pk_fma_f32 v[70:71], v[92:93], s[18:19], v[70:71] op_sel:[1,0,0] op_sel_hi:[0,0,1]
	v_add_f32_e32 v45, v43, v42
	v_fma_f32 v42, -0.5, v37, v48
	v_add_f32_e32 v37, v52, v36
	v_mov_b32_e32 v80, v54
	v_mov_b32_e32 v81, v75
	;; [unrolled: 1-line block ×6, first 2 shown]
	v_pk_add_f32 v[70:71], v[48:49], v[52:53]
	v_fma_f32 v48, -0.5, v37, v48
	v_sub_f32_e32 v43, v64, v66
	v_pk_fma_f32 v[54:55], v[50:51], s[16:17], v[54:55] op_sel_hi:[1,0,1]
	v_pk_fma_f32 v[50:51], v[50:51], s[16:17], v[76:77] op_sel_hi:[1,0,1]
	v_sub_f32_e32 v37, v62, v68
	v_fmamk_f32 v76, v43, 0xbf737871, v48
	v_fmac_f32_e32 v48, 0x3f737871, v43
	v_pk_fma_f32 v[80:81], v[46:47], s[16:17], v[80:81] op_sel_hi:[1,0,1]
	v_pk_fma_f32 v[46:47], v[46:47], s[16:17], v[74:75] op_sel_hi:[1,0,1]
	v_fmamk_f32 v74, v37, 0x3f737871, v42
	v_fmac_f32_e32 v42, 0xbf737871, v37
	v_fmac_f32_e32 v76, 0x3f167918, v37
	;; [unrolled: 1-line block ×3, first 2 shown]
	v_add_f32_e32 v37, v64, v66
	v_fmac_f32_e32 v74, 0x3f167918, v43
	v_fmac_f32_e32 v42, 0xbf167918, v43
	v_fma_f32 v43, -0.5, v37, v49
	v_sub_f32_e32 v37, v52, v36
	v_pk_add_f32 v[52:53], v[70:71], v[40:41]
	v_sub_f32_e32 v57, v68, v66
	v_sub_f32_e32 v53, v40, v44
	v_mov_b32_e32 v40, v49
	v_pk_add_f32 v[40:41], v[40:41], v[62:63]
	v_fmamk_f32 v75, v37, 0xbf737871, v43
	v_pk_add_f32 v[40:41], v[40:41], v[64:65]
	v_fmac_f32_e32 v43, 0x3f737871, v37
	v_sub_f32_e32 v41, v62, v64
	v_add_f32_e32 v41, v41, v57
	v_mul_f32_e32 v65, 0x3e9e377a, v41
	v_add_f32_e32 v41, v62, v68
	v_fmac_f32_e32 v49, -0.5, v41
	v_mul_f32_e32 v64, 0x3e9e377a, v45
	v_fmac_f32_e32 v75, 0xbf167918, v53
	v_fmac_f32_e32 v43, 0x3f167918, v53
	v_fmamk_f32 v77, v53, 0x3f737871, v49
	v_fmac_f32_e32 v49, 0xbf737871, v53
	v_mov_b32_e32 v53, v40
	v_mov_b32_e32 v45, v66
	v_fmac_f32_e32 v77, 0xbf167918, v37
	v_fmac_f32_e32 v49, 0x3f167918, v37
	v_pk_add_f32 v[44:45], v[52:53], v[44:45]
	v_mov_b32_e32 v37, v68
	v_pk_mul_f32 v[40:41], v[46:47], s[20:21]
	s_mov_b32 s20, 0x3f4f1bbd
	v_pk_add_f32 v[52:53], v[44:45], v[36:37]
	v_pk_mul_f32 v[36:37], v[80:81], s[18:19] op_sel_hi:[1,0]
	v_pk_fma_f32 v[70:71], v[38:39], s[16:17], v[48:49] op_sel_hi:[1,0,1]
	v_pk_fma_f32 v[66:67], v[80:81], s[20:21], v[36:37] op_sel:[0,0,1] op_sel_hi:[1,0,0]
	v_pk_fma_f32 v[36:37], v[80:81], s[20:21], v[36:37] op_sel:[0,0,1] op_sel_hi:[1,0,0] neg_lo:[0,0,1] neg_hi:[0,0,1]
	v_pk_add_f32 v[62:63], v[64:65], v[74:75]
	v_mov_b32_e32 v67, v37
	v_pk_mul_f32 v[36:37], v[54:55], s[0:1] op_sel_hi:[1,0]
	v_pk_add_f32 v[64:65], v[64:65], v[42:43]
	v_pk_fma_f32 v[68:69], v[54:55], s[16:17], v[36:37] op_sel:[0,0,1] op_sel_hi:[1,0,0]
	v_pk_fma_f32 v[36:37], v[54:55], s[16:17], v[36:37] op_sel:[0,0,1] op_sel_hi:[1,0,0] neg_lo:[0,0,1] neg_hi:[0,0,1]
	v_pk_fma_f32 v[54:55], v[38:39], s[16:17], v[76:77] op_sel_hi:[1,0,1]
	v_mov_b32_e32 v69, v37
	v_pk_add_f32 v[36:37], v[72:73], v[78:79]
	v_pk_fma_f32 v[74:75], v[46:47], s[20:21], v[40:41] op_sel:[0,0,1] op_sel_hi:[1,0,0] neg_lo:[1,0,0] neg_hi:[1,0,0]
	v_pk_add_f32 v[48:49], v[36:37], v[82:83]
	v_pk_mul_f32 v[36:37], v[50:51], s[6:7]
	v_pk_add_f32 v[40:41], v[52:53], v[48:49]
	v_pk_fma_f32 v[72:73], v[50:51], s[16:17], v[36:37] op_sel:[0,0,1] op_sel_hi:[1,0,0] neg_lo:[1,0,0] neg_hi:[1,0,0]
	v_pk_add_f32 v[42:43], v[62:63], v[66:67]
	v_pk_add_f32 v[36:37], v[54:55], v[68:69]
	;; [unrolled: 1-line block ×4, first 2 shown]
	v_pk_add_f32 v[46:47], v[52:53], v[48:49] neg_lo:[0,1] neg_hi:[0,1]
	v_pk_add_f32 v[48:49], v[62:63], v[66:67] neg_lo:[0,1] neg_hi:[0,1]
	;; [unrolled: 1-line block ×5, first 2 shown]
	s_and_saveexec_b64 s[0:1], s[2:3]
	s_cbranch_execz .LBB0_11
; %bb.10:
	v_add_u32_e32 v57, 0x800, v56
	ds_write2_b64 v56, v[40:41], v[42:43] offset1:80
	ds_write2_b64 v56, v[36:37], v[38:39] offset0:160 offset1:240
	ds_write2_b64 v57, v[44:45], v[46:47] offset0:64 offset1:144
	v_add_u32_e32 v57, 0xc00, v56
	ds_write2_b64 v57, v[48:49], v[50:51] offset0:96 offset1:176
	v_add_u32_e32 v57, 0x1000, v56
	ds_write2_b64 v57, v[52:53], v[54:55] offset0:128 offset1:208
.LBB0_11:
	s_or_b64 exec, exec, s[0:1]
	s_waitcnt lgkmcnt(0)
	s_barrier
	s_and_saveexec_b64 s[0:1], s[4:5]
	s_cbranch_execz .LBB0_13
; %bb.12:
	v_mov_b32_e32 v57, 0
	v_lshl_add_u64 v[62:63], s[12:13], 0, v[56:57]
	v_add_co_u32_e32 v66, vcc, 0x1000, v62
	ds_read_b64 v[64:65], v56
	s_nop 0
	v_addc_co_u32_e32 v67, vcc, 0, v63, vcc
	global_load_dwordx2 v[66:67], v[66:67], off offset:2304
	s_mov_b64 s[6:7], 0x1900
	v_lshl_add_u64 v[68:69], v[62:63], 0, s[6:7]
	s_movk_i32 s6, 0x2000
	s_waitcnt vmcnt(0) lgkmcnt(0)
	v_mul_f32_e32 v57, v65, v67
	v_mul_f32_e32 v71, v64, v67
	v_fma_f32 v70, v64, v66, -v57
	v_fmac_f32_e32 v71, v65, v66
	ds_write_b64 v56, v[70:71]
	global_load_dwordx2 v[70:71], v[68:69], off offset:400
	ds_read2_b64 v[64:67], v56 offset0:50 offset1:100
	s_waitcnt vmcnt(0) lgkmcnt(0)
	v_mul_f32_e32 v57, v65, v71
	v_mul_f32_e32 v73, v64, v71
	v_fma_f32 v72, v64, v70, -v57
	v_fmac_f32_e32 v73, v65, v70
	global_load_dwordx2 v[64:65], v[68:69], off offset:800
	s_waitcnt vmcnt(0)
	v_mul_f32_e32 v57, v67, v65
	v_mul_f32_e32 v71, v66, v65
	v_fma_f32 v70, v66, v64, -v57
	v_fmac_f32_e32 v71, v67, v64
	ds_write2_b64 v56, v[72:73], v[70:71] offset0:50 offset1:100
	global_load_dwordx2 v[70:71], v[68:69], off offset:1200
	ds_read2_b64 v[64:67], v56 offset0:150 offset1:200
	s_waitcnt vmcnt(0) lgkmcnt(0)
	v_mul_f32_e32 v57, v65, v71
	v_mul_f32_e32 v73, v64, v71
	v_fma_f32 v72, v64, v70, -v57
	v_fmac_f32_e32 v73, v65, v70
	global_load_dwordx2 v[64:65], v[68:69], off offset:1600
	s_waitcnt vmcnt(0)
	v_mul_f32_e32 v57, v67, v65
	v_mul_f32_e32 v71, v66, v65
	v_fma_f32 v70, v66, v64, -v57
	v_fmac_f32_e32 v71, v67, v64
	ds_write2_b64 v56, v[72:73], v[70:71] offset0:150 offset1:200
	global_load_dwordx2 v[70:71], v[68:69], off offset:2000
	v_add_u32_e32 v57, 0x400, v56
	ds_read2_b64 v[64:67], v57 offset0:122 offset1:172
	s_waitcnt vmcnt(0) lgkmcnt(0)
	v_mul_f32_e32 v72, v65, v71
	v_mul_f32_e32 v73, v64, v71
	v_fma_f32 v72, v64, v70, -v72
	v_fmac_f32_e32 v73, v65, v70
	global_load_dwordx2 v[64:65], v[68:69], off offset:2400
	s_waitcnt vmcnt(0)
	v_mul_f32_e32 v70, v67, v65
	v_mul_f32_e32 v71, v66, v65
	v_fma_f32 v70, v66, v64, -v70
	v_fmac_f32_e32 v71, v67, v64
	ds_write2_b64 v57, v[72:73], v[70:71] offset0:122 offset1:172
	global_load_dwordx2 v[70:71], v[68:69], off offset:2800
	v_add_u32_e32 v57, 0x800, v56
	ds_read2_b64 v[64:67], v57 offset0:94 offset1:144
	s_waitcnt vmcnt(0) lgkmcnt(0)
	v_mul_f32_e32 v72, v65, v71
	v_mul_f32_e32 v73, v64, v71
	v_fma_f32 v72, v64, v70, -v72
	v_fmac_f32_e32 v73, v65, v70
	global_load_dwordx2 v[64:65], v[68:69], off offset:3200
	s_waitcnt vmcnt(0)
	v_mul_f32_e32 v70, v67, v65
	v_mul_f32_e32 v71, v66, v65
	v_fma_f32 v70, v66, v64, -v70
	v_fmac_f32_e32 v71, v67, v64
	ds_write2_b64 v57, v[72:73], v[70:71] offset0:94 offset1:144
	global_load_dwordx2 v[70:71], v[68:69], off offset:3600
	ds_read2_b64 v[64:67], v57 offset0:194 offset1:244
	s_waitcnt vmcnt(0) lgkmcnt(0)
	v_mul_f32_e32 v72, v65, v71
	v_mul_f32_e32 v73, v64, v71
	v_fma_f32 v72, v64, v70, -v72
	v_fmac_f32_e32 v73, v65, v70
	global_load_dwordx2 v[64:65], v[68:69], off offset:4000
	s_waitcnt vmcnt(0)
	v_mul_f32_e32 v68, v67, v65
	v_mul_f32_e32 v69, v66, v65
	v_fma_f32 v68, v66, v64, -v68
	v_fmac_f32_e32 v69, v67, v64
	ds_write2_b64 v57, v[72:73], v[68:69] offset0:194 offset1:244
	v_add_co_u32_e32 v68, vcc, s6, v62
	v_add_u32_e32 v57, 0x1000, v56
	s_nop 0
	v_addc_co_u32_e32 v69, vcc, 0, v63, vcc
	global_load_dwordx2 v[70:71], v[68:69], off offset:2608
	ds_read2_b64 v[64:67], v57 offset0:38 offset1:88
	v_add_co_u32_e32 v62, vcc, 0x3000, v62
	s_nop 1
	v_addc_co_u32_e32 v63, vcc, 0, v63, vcc
	global_load_dwordx2 v[62:63], v[62:63], off offset:112
	s_waitcnt vmcnt(1) lgkmcnt(0)
	v_mul_f32_e32 v72, v65, v71
	v_mul_f32_e32 v73, v64, v71
	v_fma_f32 v72, v64, v70, -v72
	v_fmac_f32_e32 v73, v65, v70
	global_load_dwordx2 v[64:65], v[68:69], off offset:3008
	s_waitcnt vmcnt(0)
	v_mul_f32_e32 v70, v67, v65
	v_mul_f32_e32 v71, v66, v65
	v_fma_f32 v70, v66, v64, -v70
	v_fmac_f32_e32 v71, v67, v64
	ds_write2_b64 v57, v[72:73], v[70:71] offset0:38 offset1:88
	global_load_dwordx2 v[70:71], v[68:69], off offset:3408
	ds_read2_b64 v[64:67], v57 offset0:138 offset1:188
	s_waitcnt vmcnt(0) lgkmcnt(0)
	v_mul_f32_e32 v72, v65, v71
	v_mul_f32_e32 v73, v64, v71
	v_fma_f32 v72, v64, v70, -v72
	v_fmac_f32_e32 v73, v65, v70
	global_load_dwordx2 v[64:65], v[68:69], off offset:3808
	s_waitcnt vmcnt(0)
	v_mul_f32_e32 v68, v67, v65
	v_mul_f32_e32 v69, v66, v65
	v_fma_f32 v68, v66, v64, -v68
	v_fmac_f32_e32 v69, v67, v64
	ds_read_b64 v[64:65], v56 offset:6000
	ds_write2_b64 v57, v[72:73], v[68:69] offset0:138 offset1:188
	s_waitcnt lgkmcnt(1)
	v_mul_f32_e32 v57, v65, v63
	v_mul_f32_e32 v67, v64, v63
	v_fma_f32 v66, v64, v62, -v57
	v_fmac_f32_e32 v67, v65, v62
	ds_write_b64 v56, v[66:67] offset:6000
.LBB0_13:
	s_or_b64 exec, exec, s[0:1]
	s_waitcnt lgkmcnt(0)
	s_barrier
	s_and_saveexec_b64 s[0:1], s[4:5]
	s_cbranch_execz .LBB0_15
; %bb.14:
	v_add_u32_e32 v28, 0x800, v56
	v_add_u32_e32 v12, 0xc00, v56
	ds_read2_b64 v[36:39], v56 offset0:100 offset1:150
	ds_read2_b64 v[40:43], v56 offset1:50
	ds_read2_b64 v[52:55], v28 offset0:144 offset1:194
	ds_read2_b64 v[12:15], v12 offset0:116 offset1:166
	;; [unrolled: 1-line block ×4, first 2 shown]
	v_add_u32_e32 v32, 0x1000, v56
	ds_read2_b64 v[28:31], v32 offset0:88 offset1:138
	ds_read2_b64 v[32:35], v32 offset0:188 offset1:238
.LBB0_15:
	s_or_b64 exec, exec, s[0:1]
	s_waitcnt lgkmcnt(5)
	v_pk_add_f32 v[52:53], v[40:41], v[52:53] neg_lo:[0,1] neg_hi:[0,1]
	s_waitcnt lgkmcnt(1)
	v_pk_add_f32 v[70:71], v[44:45], v[28:29] neg_lo:[0,1] neg_hi:[0,1]
	v_pk_add_f32 v[72:73], v[36:37], v[12:13] neg_lo:[0,1] neg_hi:[0,1]
	s_waitcnt lgkmcnt(0)
	v_pk_add_f32 v[32:33], v[48:49], v[32:33] neg_lo:[0,1] neg_hi:[0,1]
	v_pk_add_f32 v[74:75], v[42:43], v[54:55] neg_lo:[0,1] neg_hi:[0,1]
	;; [unrolled: 1-line block ×5, first 2 shown]
	v_pk_fma_f32 v[12:13], v[40:41], 2.0, v[52:53] op_sel_hi:[1,0,1] neg_lo:[0,0,1] neg_hi:[0,0,1]
	v_pk_fma_f32 v[28:29], v[44:45], 2.0, v[70:71] op_sel_hi:[1,0,1] neg_lo:[0,0,1] neg_hi:[0,0,1]
	;; [unrolled: 1-line block ×8, first 2 shown]
	v_pk_add_f32 v[28:29], v[12:13], v[28:29] neg_lo:[0,1] neg_hi:[0,1]
	v_pk_add_f32 v[76:77], v[36:37], v[40:41] neg_lo:[0,1] neg_hi:[0,1]
	;; [unrolled: 1-line block ×4, first 2 shown]
	v_pk_fma_f32 v[12:13], v[12:13], 2.0, v[28:29] op_sel_hi:[1,0,1] neg_lo:[0,0,1] neg_hi:[0,0,1]
	v_pk_fma_f32 v[36:37], v[36:37], 2.0, v[76:77] op_sel_hi:[1,0,1] neg_lo:[0,0,1] neg_hi:[0,0,1]
	;; [unrolled: 1-line block ×4, first 2 shown]
	v_pk_add_f32 v[44:45], v[12:13], v[36:37] neg_lo:[0,1] neg_hi:[0,1]
	v_pk_add_f32 v[46:47], v[48:49], v[38:39] neg_lo:[0,1] neg_hi:[0,1]
	v_mov_b32_e32 v36, v71
	v_mov_b32_e32 v37, v53
	;; [unrolled: 1-line block ×4, first 2 shown]
	v_pk_fma_f32 v[42:43], v[12:13], 2.0, v[44:45] op_sel_hi:[1,0,1] neg_lo:[0,0,1] neg_hi:[0,0,1]
	v_pk_fma_f32 v[12:13], v[48:49], 2.0, v[46:47] op_sel_hi:[1,0,1] neg_lo:[0,0,1] neg_hi:[0,0,1]
	v_pk_add_f32 v[48:49], v[36:37], v[38:39]
	v_pk_add_f32 v[50:51], v[36:37], v[38:39] neg_lo:[0,1] neg_hi:[0,1]
	v_mov_b32_e32 v38, v33
	v_mov_b32_e32 v49, v51
	v_pk_fma_f32 v[36:37], v[52:53], 2.0, v[48:49] op_sel_hi:[1,0,1] neg_lo:[0,0,1] neg_hi:[0,0,1]
	v_mov_b32_e32 v52, v72
	v_mov_b32_e32 v53, v32
	v_pk_add_f32 v[38:39], v[38:39], v[72:73]
	v_pk_add_f32 v[32:33], v[72:73], v[52:53] neg_lo:[0,1] neg_hi:[0,1]
	v_mov_b32_e32 v54, v31
	v_mov_b32_e32 v55, v75
	v_mov_b32_e32 v70, v74
	v_mov_b32_e32 v71, v30
	v_mov_b32_e32 v39, v33
	v_pk_add_f32 v[52:53], v[54:55], v[70:71]
	v_pk_add_f32 v[54:55], v[54:55], v[70:71] neg_lo:[0,1] neg_hi:[0,1]
	v_mov_b32_e32 v50, v35
	v_mov_b32_e32 v70, v14
	;; [unrolled: 1-line block ×3, first 2 shown]
	v_pk_fma_f32 v[32:33], v[72:73], 2.0, v[38:39] op_sel_hi:[1,0,1] neg_lo:[0,0,1] neg_hi:[0,0,1]
	v_pk_add_f32 v[34:35], v[50:51], v[14:15]
	v_pk_add_f32 v[70:71], v[14:15], v[70:71] neg_lo:[0,1] neg_hi:[0,1]
	s_mov_b32 s0, 0x3f3504f3
	v_mov_b32_e32 v35, v71
	v_pk_mul_f32 v[70:71], v[32:33], s[0:1] op_sel_hi:[1,0]
	v_pk_fma_f32 v[32:33], v[32:33], s[0:1], v[36:37] op_sel_hi:[1,0,1] neg_lo:[1,0,0] neg_hi:[1,0,0]
	v_mov_b32_e32 v53, v55
	v_pk_add_f32 v[72:73], v[32:33], v[70:71] op_sel:[0,1] op_sel_hi:[1,0]
	v_pk_add_f32 v[32:33], v[32:33], v[70:71] op_sel:[0,1] op_sel_hi:[1,0] neg_lo:[0,1] neg_hi:[0,1]
	v_pk_fma_f32 v[30:31], v[74:75], 2.0, v[52:53] op_sel_hi:[1,0,1] neg_lo:[0,0,1] neg_hi:[0,0,1]
	v_pk_fma_f32 v[14:15], v[14:15], 2.0, v[34:35] op_sel_hi:[1,0,1] neg_lo:[0,0,1] neg_hi:[0,0,1]
	v_mov_b32_e32 v73, v33
	v_pk_fma_f32 v[70:71], v[36:37], 2.0, v[72:73] op_sel_hi:[1,0,1] neg_lo:[0,0,1] neg_hi:[0,0,1]
	v_pk_mul_f32 v[36:37], v[14:15], s[0:1] op_sel_hi:[1,0]
	v_pk_fma_f32 v[14:15], v[14:15], s[0:1], v[30:31] op_sel_hi:[1,0,1] neg_lo:[1,0,0] neg_hi:[1,0,0]
	s_mov_b32 s6, 0x3f6c835e
	v_pk_add_f32 v[74:75], v[14:15], v[36:37] op_sel:[0,1] op_sel_hi:[1,0]
	v_pk_add_f32 v[36:37], v[14:15], v[36:37] op_sel:[0,1] op_sel_hi:[1,0] neg_lo:[0,1] neg_hi:[0,1]
	s_mov_b32 s16, 0x3ec3ef15
	v_mov_b32_e32 v75, v37
	v_pk_fma_f32 v[14:15], v[30:31], 2.0, v[74:75] op_sel_hi:[1,0,1] neg_lo:[0,0,1] neg_hi:[0,0,1]
	v_fmamk_f32 v50, v74, 0x3ec3ef15, v72
	v_pk_fma_f32 v[30:31], v[14:15], s[6:7], v[70:71] op_sel_hi:[1,0,1] neg_lo:[1,0,0] neg_hi:[1,0,0]
	v_pk_mul_f32 v[80:81], v[14:15], s[16:17] op_sel_hi:[1,0]
	v_fmamk_f32 v54, v37, 0x3ec3ef15, v33
	v_pk_add_f32 v[14:15], v[30:31], v[80:81] op_sel:[0,1] op_sel_hi:[1,0]
	v_pk_add_f32 v[30:31], v[30:31], v[80:81] op_sel:[0,1] op_sel_hi:[1,0] neg_lo:[0,1] neg_hi:[0,1]
	v_fmac_f32_e32 v50, 0x3f6c835e, v37
	v_fmac_f32_e32 v54, 0xbf6c835e, v74
	v_mov_b32_e32 v15, v31
	v_fma_f32 v30, v72, 2.0, -v50
	v_fma_f32 v31, v33, 2.0, -v54
	v_pk_add_f32 v[72:73], v[28:29], v[76:77] op_sel:[0,1] op_sel_hi:[1,0]
	v_pk_add_f32 v[32:33], v[28:29], v[76:77] op_sel:[0,1] op_sel_hi:[1,0] neg_lo:[0,1] neg_hi:[0,1]
	v_pk_add_f32 v[74:75], v[40:41], v[78:79] op_sel:[0,1] op_sel_hi:[1,0]
	v_mov_b32_e32 v73, v33
	v_pk_add_f32 v[32:33], v[40:41], v[78:79] op_sel:[0,1] op_sel_hi:[1,0] neg_lo:[0,1] neg_hi:[0,1]
	v_pk_mul_f32 v[78:79], v[38:39], s[0:1] op_sel_hi:[1,0]
	v_mov_b32_e32 v75, v33
	v_pk_mul_f32 v[32:33], v[74:75], s[0:1] op_sel_hi:[1,0]
	v_pk_fma_f32 v[76:77], v[74:75], s[0:1], v[72:73] op_sel_hi:[1,0,1]
	v_pk_fma_f32 v[38:39], v[38:39], s[0:1], v[48:49] op_sel_hi:[1,0,1]
	v_pk_add_f32 v[36:37], v[76:77], v[32:33] op_sel:[0,1] op_sel_hi:[1,0]
	v_pk_add_f32 v[32:33], v[76:77], v[32:33] op_sel:[0,1] op_sel_hi:[1,0] neg_lo:[0,1] neg_hi:[0,1]
	v_pk_add_f32 v[76:77], v[38:39], v[78:79] op_sel:[0,1] op_sel_hi:[1,0]
	v_pk_add_f32 v[78:79], v[38:39], v[78:79] op_sel:[0,1] op_sel_hi:[1,0] neg_lo:[0,1] neg_hi:[0,1]
	v_pk_mul_f32 v[38:39], v[34:35], s[0:1] op_sel_hi:[1,0]
	v_pk_fma_f32 v[34:35], v[34:35], s[0:1], v[52:53] op_sel_hi:[1,0,1]
	v_mov_b32_e32 v77, v79
	v_pk_add_f32 v[80:81], v[34:35], v[38:39] op_sel:[0,1] op_sel_hi:[1,0]
	v_pk_add_f32 v[82:83], v[34:35], v[38:39] op_sel:[0,1] op_sel_hi:[1,0] neg_lo:[0,1] neg_hi:[0,1]
	v_mov_b32_e32 v37, v33
	v_mov_b32_e32 v81, v83
	v_pk_fma_f32 v[34:35], v[80:81], s[6:7], v[76:77] op_sel_hi:[1,0,1]
	v_pk_mul_f32 v[86:87], v[80:81], s[16:17] op_sel_hi:[1,0]
	v_mov_b32_e32 v62, v0
	v_pk_add_f32 v[38:39], v[34:35], v[86:87] op_sel:[0,1] op_sel_hi:[1,0]
	v_pk_add_f32 v[34:35], v[34:35], v[86:87] op_sel:[0,1] op_sel_hi:[1,0] neg_lo:[0,1] neg_hi:[0,1]
	v_mov_b32_e32 v63, v0
	v_mov_b32_e32 v39, v35
	v_mov_b32_e32 v0, v1
	v_mov_b32_e32 v68, v2
	v_mov_b32_e32 v69, v2
	v_mov_b32_e32 v2, v3
	v_mov_b32_e32 v66, v4
	v_mov_b32_e32 v67, v4
	v_mov_b32_e32 v4, v5
	v_mov_b32_e32 v64, v6
	v_mov_b32_e32 v65, v6
	v_mov_b32_e32 v6, v7
	v_pk_add_f32 v[12:13], v[42:43], v[12:13] neg_lo:[0,1] neg_hi:[0,1]
	v_pk_fma_f32 v[32:33], v[72:73], 2.0, v[36:37] op_sel_hi:[1,0,1] neg_lo:[0,0,1] neg_hi:[0,0,1]
	v_pk_fma_f32 v[34:35], v[76:77], 2.0, v[38:39] op_sel_hi:[1,0,1] neg_lo:[0,0,1] neg_hi:[0,0,1]
	s_barrier
	s_and_saveexec_b64 s[6:7], s[4:5]
	s_cbranch_execz .LBB0_17
; %bb.16:
	v_sub_f32_e32 v49, v45, v46
	v_mov_b32_e32 v87, v44
	v_fma_f32 v53, v45, 2.0, -v49
	v_pk_add_f32 v[88:89], v[46:47], v[86:87]
	v_fma_f32 v45, v52, 2.0, -v80
	v_fma_f32 v47, v48, 2.0, -v76
	;; [unrolled: 1-line block ×4, first 2 shown]
	v_fmamk_f32 v46, v45, 0xbec3ef15, v47
	v_fmamk_f32 v88, v44, 0xbec3ef15, v86
	v_fmac_f32_e32 v46, 0x3f6c835e, v44
	v_fmac_f32_e32 v88, 0xbf6c835e, v45
	v_fma_f32 v76, v47, 2.0, -v46
	v_lshlrev_b32_e32 v47, 3, v84
	v_pk_fma_f32 v[42:43], v[42:43], 2.0, v[12:13] op_sel_hi:[1,0,1] neg_lo:[0,0,1] neg_hi:[0,0,1]
	v_pk_fma_f32 v[44:45], v[70:71], 2.0, v[14:15] op_sel_hi:[1,0,1] neg_lo:[0,0,1] neg_hi:[0,0,1]
	;; [unrolled: 1-line block ×4, first 2 shown]
	ds_write_b128 v47, v[42:45]
	v_pk_mul_f32 v[42:43], v[40:41], s[0:1] op_sel_hi:[1,0]
	v_pk_fma_f32 v[40:41], v[40:41], s[0:1], v[28:29] op_sel_hi:[1,0,1] neg_lo:[1,0,0] neg_hi:[1,0,0]
	s_nop 0
	v_pk_add_f32 v[44:45], v[40:41], v[42:43] op_sel:[0,1] op_sel_hi:[1,0]
	v_pk_add_f32 v[40:41], v[40:41], v[42:43] op_sel:[0,1] op_sel_hi:[1,0] neg_lo:[0,1] neg_hi:[0,1]
	s_nop 0
	v_mov_b32_e32 v45, v41
	v_pk_fma_f32 v[74:75], v[28:29], 2.0, v[44:45] op_sel_hi:[1,0,1] neg_lo:[0,0,1] neg_hi:[0,0,1]
	v_pk_fma_f32 v[28:29], v[86:87], 2.0, v[88:89] op_sel_hi:[1,0,1] neg_lo:[0,0,1] neg_hi:[0,0,1]
	ds_write_b96 v47, v[74:76] offset:16
	ds_write2_b32 v47, v28, v29 offset0:7 offset1:8
	ds_write2_b32 v47, v53, v30 offset0:9 offset1:10
	ds_write_b128 v47, v[32:35] offset:48
	ds_write_b128 v47, v[12:15] offset:64
	ds_write_b96 v47, v[44:46] offset:80
	ds_write2_b32 v47, v88, v89 offset0:23 offset1:24
	ds_write2_b32 v47, v49, v50 offset0:25 offset1:26
	;; [unrolled: 1-line block ×3, first 2 shown]
	ds_write_b128 v47, v[36:39] offset:112
.LBB0_17:
	s_or_b64 exec, exec, s[6:7]
	v_add_u32_e32 v36, 0x800, v56
	s_waitcnt lgkmcnt(0)
	s_barrier
	ds_read2_b64 v[38:41], v36 offset0:64 offset1:224
	ds_read2_b64 v[42:45], v56 offset1:160
	ds_read_b64 v[28:29], v56 offset:5120
	s_mov_b32 s0, 0x3f737871
	s_mov_b32 s6, 0x3f167918
	s_waitcnt lgkmcnt(2)
	v_pk_mul_f32 v[2:3], v[2:3], v[38:39]
	s_waitcnt lgkmcnt(1)
	v_pk_mul_f32 v[0:1], v[0:1], v[44:45]
	v_pk_fma_f32 v[46:47], v[68:69], v[38:39], v[2:3] op_sel:[0,0,1] op_sel_hi:[1,1,0]
	v_pk_fma_f32 v[2:3], v[68:69], v[38:39], v[2:3] op_sel:[0,0,1] op_sel_hi:[1,1,0] neg_lo:[0,0,1] neg_hi:[0,0,1]
	v_pk_fma_f32 v[38:39], v[62:63], v[44:45], v[0:1] op_sel:[0,0,1] op_sel_hi:[1,1,0]
	v_mov_b32_e32 v47, v3
	v_pk_mul_f32 v[2:3], v[4:5], v[40:41]
	v_pk_fma_f32 v[0:1], v[62:63], v[44:45], v[0:1] op_sel:[0,0,1] op_sel_hi:[1,1,0] neg_lo:[0,0,1] neg_hi:[0,0,1]
	v_pk_fma_f32 v[4:5], v[66:67], v[40:41], v[2:3] op_sel:[0,0,1] op_sel_hi:[1,1,0]
	v_pk_fma_f32 v[2:3], v[66:67], v[40:41], v[2:3] op_sel:[0,0,1] op_sel_hi:[1,1,0] neg_lo:[0,0,1] neg_hi:[0,0,1]
	v_mov_b32_e32 v39, v1
	v_mov_b32_e32 v5, v3
	s_waitcnt lgkmcnt(0)
	v_pk_mul_f32 v[2:3], v[6:7], v[28:29]
	v_pk_add_f32 v[0:1], v[46:47], v[4:5]
	v_pk_fma_f32 v[6:7], v[64:65], v[28:29], v[2:3] op_sel:[0,0,1] op_sel_hi:[1,1,0]
	v_pk_fma_f32 v[2:3], v[64:65], v[28:29], v[2:3] op_sel:[0,0,1] op_sel_hi:[1,1,0] neg_lo:[0,0,1] neg_hi:[0,0,1]
	v_pk_add_f32 v[44:45], v[46:47], v[4:5] neg_lo:[0,1] neg_hi:[0,1]
	v_mov_b32_e32 v7, v3
	v_pk_add_f32 v[40:41], v[38:39], v[6:7] neg_lo:[0,1] neg_hi:[0,1]
	v_pk_fma_f32 v[2:3], v[0:1], 0.5, v[42:43] op_sel_hi:[1,0,1] neg_lo:[1,0,0] neg_hi:[1,0,0]
	v_pk_mul_f32 v[28:29], v[40:41], s[0:1] op_sel_hi:[1,0]
	v_pk_mul_f32 v[48:49], v[44:45], s[6:7] op_sel_hi:[1,0]
	v_pk_add_f32 v[0:1], v[38:39], v[46:47] neg_lo:[0,1] neg_hi:[0,1]
	v_pk_add_f32 v[50:51], v[6:7], v[4:5] neg_lo:[0,1] neg_hi:[0,1]
	v_pk_add_f32 v[52:53], v[2:3], v[28:29] op_sel:[0,1] op_sel_hi:[1,0] neg_lo:[0,1] neg_hi:[0,1]
	v_pk_add_f32 v[2:3], v[2:3], v[28:29] op_sel:[0,1] op_sel_hi:[1,0]
	v_pk_add_f32 v[50:51], v[0:1], v[50:51]
	v_pk_add_f32 v[0:1], v[42:43], v[38:39]
	v_pk_add_f32 v[28:29], v[2:3], v[48:49] op_sel:[0,1] op_sel_hi:[1,0]
	v_pk_add_f32 v[48:49], v[52:53], v[48:49] op_sel:[0,1] op_sel_hi:[1,0] neg_lo:[0,1] neg_hi:[0,1]
	v_pk_add_f32 v[0:1], v[0:1], v[46:47]
	v_mov_b32_e32 v2, v48
	v_mov_b32_e32 v3, v29
	;; [unrolled: 1-line block ×3, first 2 shown]
	v_pk_add_f32 v[48:49], v[38:39], v[6:7]
	v_pk_add_f32 v[0:1], v[0:1], v[4:5]
	v_pk_fma_f32 v[42:43], v[48:49], 0.5, v[42:43] op_sel_hi:[1,0,1] neg_lo:[1,0,0] neg_hi:[1,0,0]
	v_pk_mul_f32 v[44:45], v[44:45], s[0:1] op_sel_hi:[1,0]
	v_pk_add_f32 v[38:39], v[46:47], v[38:39] neg_lo:[0,1] neg_hi:[0,1]
	v_pk_add_f32 v[4:5], v[4:5], v[6:7] neg_lo:[0,1] neg_hi:[0,1]
	v_pk_add_f32 v[0:1], v[0:1], v[6:7]
	v_pk_mul_f32 v[40:41], v[40:41], s[6:7] op_sel_hi:[1,0]
	v_pk_add_f32 v[6:7], v[38:39], v[4:5]
	v_pk_add_f32 v[4:5], v[42:43], v[44:45] op_sel:[0,1] op_sel_hi:[1,0]
	v_pk_add_f32 v[38:39], v[42:43], v[44:45] op_sel:[0,1] op_sel_hi:[1,0] neg_lo:[0,1] neg_hi:[0,1]
	s_mov_b32 s16, 0x3e9e377a
	v_pk_add_f32 v[38:39], v[38:39], v[40:41] op_sel:[0,1] op_sel_hi:[1,0]
	v_pk_add_f32 v[40:41], v[4:5], v[40:41] op_sel:[0,1] op_sel_hi:[1,0] neg_lo:[0,1] neg_hi:[0,1]
	v_mov_b32_e32 v5, v39
	v_mov_b32_e32 v4, v40
	;; [unrolled: 1-line block ×3, first 2 shown]
	v_pk_fma_f32 v[2:3], v[50:51], s[16:17], v[2:3] op_sel_hi:[1,0,1]
	v_pk_fma_f32 v[28:29], v[50:51], s[16:17], v[28:29] op_sel_hi:[1,0,1]
	v_pk_fma_f32 v[4:5], v[6:7], s[16:17], v[4:5] op_sel_hi:[1,0,1]
	v_pk_fma_f32 v[6:7], v[6:7], s[16:17], v[38:39] op_sel_hi:[1,0,1]
	s_barrier
	ds_write2_b64 v85, v[0:1], v[2:3] offset1:16
	ds_write2_b64 v85, v[4:5], v[6:7] offset0:32 offset1:48
	ds_write_b64 v85, v[28:29] offset:512
	s_waitcnt lgkmcnt(0)
	s_barrier
	s_and_saveexec_b64 s[0:1], s[2:3]
	s_cbranch_execz .LBB0_19
; %bb.18:
	v_add_u32_e32 v12, 0xc00, v56
	ds_read2_b64 v[0:3], v56 offset1:80
	ds_read2_b64 v[4:7], v56 offset0:160 offset1:240
	ds_read2_b64 v[28:31], v36 offset0:64 offset1:144
	;; [unrolled: 1-line block ×3, first 2 shown]
	v_add_u32_e32 v12, 0x1000, v56
	ds_read2_b64 v[12:15], v12 offset0:128 offset1:208
.LBB0_19:
	s_or_b64 exec, exec, s[0:1]
	s_and_saveexec_b64 s[0:1], s[2:3]
	s_cbranch_execz .LBB0_21
; %bb.20:
	s_waitcnt lgkmcnt(3)
	v_pk_mul_f32 v[36:37], v[10:11], v[4:5] op_sel:[0,1]
	s_waitcnt lgkmcnt(2)
	v_pk_mul_f32 v[38:39], v[26:27], v[28:29] op_sel:[0,1]
	v_pk_fma_f32 v[54:55], v[10:11], v[4:5], v[36:37] op_sel:[0,0,1] op_sel_hi:[1,1,0]
	v_pk_fma_f32 v[4:5], v[10:11], v[4:5], v[36:37] op_sel:[0,0,1] op_sel_hi:[1,0,0] neg_lo:[1,0,0] neg_hi:[1,0,0]
	s_waitcnt lgkmcnt(0)
	v_pk_mul_f32 v[40:41], v[18:19], v[12:13] op_sel:[0,1]
	v_mov_b32_e32 v55, v5
	v_pk_fma_f32 v[4:5], v[26:27], v[28:29], v[38:39] op_sel:[0,0,1] op_sel_hi:[1,1,0]
	v_pk_fma_f32 v[10:11], v[26:27], v[28:29], v[38:39] op_sel:[0,0,1] op_sel_hi:[1,0,0] neg_lo:[1,0,0] neg_hi:[1,0,0]
	v_pk_mul_f32 v[42:43], v[22:23], v[32:33] op_sel:[0,1]
	v_mov_b32_e32 v46, v31
	v_mov_b32_e32 v48, v15
	v_mov_b32_e32 v5, v11
	v_pk_fma_f32 v[10:11], v[18:19], v[12:13], v[40:41] op_sel:[0,0,1] op_sel_hi:[1,1,0]
	v_pk_fma_f32 v[12:13], v[18:19], v[12:13], v[40:41] op_sel:[0,0,1] op_sel_hi:[1,0,0] neg_lo:[1,0,0] neg_hi:[1,0,0]
	v_pk_mul_f32 v[44:45], v[24:25], v[6:7] op_sel:[0,1]
	v_pk_mul_f32 v[46:47], v[20:21], v[46:47] op_sel_hi:[1,0]
	v_pk_mul_f32 v[48:49], v[60:61], v[48:49] op_sel_hi:[1,0]
	v_pk_mul_f32 v[50:51], v[16:17], v[34:35] op_sel:[0,1]
	v_mov_b32_e32 v11, v13
	v_pk_fma_f32 v[12:13], v[22:23], v[32:33], v[42:43] op_sel:[0,0,1] op_sel_hi:[1,1,0]
	v_pk_fma_f32 v[18:19], v[22:23], v[32:33], v[42:43] op_sel:[0,0,1] op_sel_hi:[1,0,0] neg_lo:[1,0,0] neg_hi:[1,0,0]
	v_pk_fma_f32 v[22:23], v[20:21], v[30:31], v[46:47] op_sel:[0,0,1] op_sel_hi:[1,1,0]
	v_mov_b32_e32 v13, v19
	v_pk_fma_f32 v[18:19], v[24:25], v[6:7], v[44:45] op_sel:[0,0,1] op_sel_hi:[1,1,0]
	v_pk_fma_f32 v[6:7], v[24:25], v[6:7], v[44:45] op_sel:[0,0,1] op_sel_hi:[1,0,0] neg_lo:[1,0,0] neg_hi:[1,0,0]
	v_pk_fma_f32 v[24:25], v[60:61], v[14:15], v[48:49] op_sel:[0,0,1] op_sel_hi:[1,1,0]
	v_pk_fma_f32 v[26:27], v[16:17], v[34:35], v[50:51] op_sel:[0,0,1] op_sel_hi:[1,1,0]
	v_pk_fma_f32 v[20:21], v[20:21], v[30:31], v[46:47] op_sel:[0,0,1] op_sel_hi:[1,0,0] neg_lo:[1,0,0] neg_hi:[1,0,0]
	v_mov_b32_e32 v28, v24
	v_mov_b32_e32 v29, v18
	;; [unrolled: 1-line block ×4, first 2 shown]
	v_pk_add_f32 v[32:33], v[28:29], v[30:31] neg_lo:[0,1] neg_hi:[0,1]
	v_pk_fma_f32 v[14:15], v[60:61], v[14:15], v[48:49] op_sel:[0,0,1] op_sel_hi:[1,0,0] neg_lo:[1,0,0] neg_hi:[1,0,0]
	v_pk_fma_f32 v[16:17], v[16:17], v[34:35], v[50:51] op_sel:[0,0,1] op_sel_hi:[1,0,0] neg_lo:[1,0,0] neg_hi:[1,0,0]
	v_mov_b32_e32 v6, v33
	v_pk_add_f32 v[32:33], v[32:33], v[6:7]
	v_mov_b32_e32 v6, v15
	v_mov_b32_e32 v20, v17
	v_pk_mul_f32 v[52:53], v[8:9], v[2:3] op_sel:[0,1]
	v_mov_b32_e32 v19, v7
	v_mov_b32_e32 v25, v15
	v_pk_add_f32 v[14:15], v[6:7], v[20:21] neg_lo:[0,1] neg_hi:[0,1]
	v_pk_add_f32 v[28:29], v[30:31], v[28:29] neg_lo:[0,1] neg_hi:[0,1]
	;; [unrolled: 1-line block ×3, first 2 shown]
	v_mov_b32_e32 v23, v21
	v_mov_b32_e32 v27, v17
	v_pk_fma_f32 v[36:37], v[8:9], v[2:3], v[52:53] op_sel:[0,0,1] op_sel_hi:[1,0,0]
	v_pk_fma_f32 v[2:3], v[8:9], v[2:3], v[52:53] op_sel:[0,0,1] op_sel_hi:[1,0,0] neg_lo:[1,0,0] neg_hi:[1,0,0]
	v_mov_b32_e32 v30, v29
	v_mov_b32_e32 v20, v7
	v_pk_add_f32 v[34:35], v[26:27], v[22:23]
	v_mov_b32_e32 v37, v3
	v_pk_add_f32 v[8:9], v[18:19], v[24:25] neg_lo:[0,1] neg_hi:[0,1]
	s_mov_b32 s2, 0x3e9e377a
	v_mov_b32_e32 v16, v15
	v_pk_add_f32 v[28:29], v[28:29], v[30:31]
	v_pk_add_f32 v[30:31], v[24:25], v[18:19]
	;; [unrolled: 1-line block ×3, first 2 shown]
	v_pk_add_f32 v[38:39], v[22:23], v[26:27] neg_lo:[0,1] neg_hi:[0,1]
	s_mov_b32 s3, 0x3f167918
	v_pk_add_f32 v[14:15], v[14:15], v[16:17]
	v_fma_f32 v17, -0.5, v35, v3
	v_fmac_f32_e32 v3, -0.5, v31
	v_mov_b32_e32 v7, v8
	v_pk_add_f32 v[18:19], v[18:19], v[36:37]
	v_fma_f32 v34, -0.5, v34, v36
	v_mov_b32_e32 v33, v39
	v_mov_b32_e32 v35, v36
	v_fmamk_f32 v20, v38, 0x3f737871, v3
	v_pk_mul_f32 v[6:7], v[6:7], s[2:3]
	v_fmac_f32_e32 v3, 0xbf737871, v38
	v_pk_add_f32 v[18:19], v[22:23], v[18:19]
	v_fmamk_f32 v2, v9, 0x3f737871, v34
	v_pk_mul_f32 v[32:33], v[32:33], s[2:3]
	v_mov_b32_e32 v15, v38
	v_mov_b32_e32 v29, v9
	v_fmac_f32_e32 v35, -0.5, v30
	v_sub_f32_e32 v20, v20, v7
	v_add_f32_e32 v3, v7, v3
	v_fmac_f32_e32 v34, 0xbf737871, v9
	v_pk_add_f32 v[18:19], v[26:27], v[18:19]
	s_mov_b32 s6, 0x3f737871
	v_add_f32_e32 v2, v33, v2
	v_fmamk_f32 v16, v8, 0xbf737871, v17
	v_pk_mul_f32 v[14:15], v[14:15], s[2:3]
	v_pk_mul_f32 v[28:29], v[28:29], s[2:3]
	v_fmamk_f32 v30, v39, 0xbf737871, v35
	v_add_f32_e32 v20, v6, v20
	v_fmac_f32_e32 v35, 0x3f737871, v39
	v_add_f32_e32 v6, v6, v3
	v_sub_f32_e32 v3, v34, v33
	v_fmac_f32_e32 v17, 0x3f737871, v8
	v_pk_add_f32 v[18:19], v[24:25], v[18:19]
	v_pk_add_f32 v[24:25], v[12:13], v[4:5]
	v_pk_add_f32 v[26:27], v[54:55], v[10:11] neg_lo:[0,1] neg_hi:[0,1]
	v_add_f32_e32 v2, v32, v2
	v_sub_f32_e32 v16, v16, v15
	v_sub_f32_e32 v21, v35, v29
	v_add_f32_e32 v32, v32, v3
	v_add_f32_e32 v3, v15, v17
	v_pk_fma_f32 v[24:25], v[24:25], 0.5, v[0:1] op_sel_hi:[1,0,1] neg_lo:[1,0,0] neg_hi:[1,0,0]
	v_pk_mul_f32 v[34:35], v[26:27], s[6:7] op_sel_hi:[1,0]
	v_pk_add_f32 v[36:37], v[4:5], v[12:13] neg_lo:[0,1] neg_hi:[0,1]
	s_mov_b32 s16, s3
	v_pk_add_f32 v[40:41], v[54:55], v[4:5] neg_lo:[0,1] neg_hi:[0,1]
	v_pk_add_f32 v[42:43], v[10:11], v[12:13] neg_lo:[0,1] neg_hi:[0,1]
	s_mov_b32 s18, 0x3f4f1bbd
	v_add_f32_e32 v16, v14, v16
	v_add_f32_e32 v8, v14, v3
	v_pk_add_f32 v[14:15], v[54:55], v[0:1]
	v_pk_mul_f32 v[38:39], v[36:37], s[16:17] op_sel_hi:[1,0]
	v_pk_add_f32 v[40:41], v[42:43], v[40:41]
	v_pk_add_f32 v[42:43], v[24:25], v[34:35] op_sel:[0,1] op_sel_hi:[1,0] neg_lo:[0,1] neg_hi:[0,1]
	v_pk_add_f32 v[24:25], v[24:25], v[34:35] op_sel:[0,1] op_sel_hi:[1,0]
	s_mov_b32 s20, s3
	s_mov_b32 s21, s18
	v_pk_add_f32 v[14:15], v[4:5], v[14:15]
	v_pk_add_f32 v[24:25], v[24:25], v[38:39] op_sel:[0,1] op_sel_hi:[1,0]
	v_pk_add_f32 v[34:35], v[42:43], v[38:39] op_sel:[0,1] op_sel_hi:[1,0] neg_lo:[0,1] neg_hi:[0,1]
	s_mov_b32 s19, s3
	v_pk_mul_f32 v[8:9], v[8:9], s[20:21] op_sel_hi:[0,1]
	v_pk_add_f32 v[14:15], v[12:13], v[14:15]
	v_mov_b32_e32 v38, v34
	v_mov_b32_e32 v39, v25
	v_pk_fma_f32 v[42:43], v[32:33], s[18:19], v[8:9] neg_lo:[0,0,1] neg_hi:[0,0,1]
	v_pk_fma_f32 v[8:9], v[32:33], s[18:19], v[8:9] op_sel_hi:[0,1,1]
	v_pk_add_f32 v[14:15], v[10:11], v[14:15]
	v_pk_fma_f32 v[38:39], v[40:41], s[2:3], v[38:39] op_sel_hi:[1,0,1]
	v_mov_b32_e32 v43, v9
	v_pk_add_f32 v[22:23], v[14:15], v[18:19]
	v_pk_add_f32 v[8:9], v[38:39], v[42:43]
	v_add_f32_e32 v30, v29, v30
	ds_write2_b64 v56, v[22:23], v[8:9] offset1:80
	v_pk_add_f32 v[4:5], v[4:5], v[54:55] neg_lo:[0,1] neg_hi:[0,1]
	v_pk_add_f32 v[8:9], v[12:13], v[10:11] neg_lo:[0,1] neg_hi:[0,1]
	s_mov_b32 s7, s2
	v_add_f32_e32 v30, v28, v30
	v_add_f32_e32 v28, v28, v21
	v_pk_add_f32 v[4:5], v[8:9], v[4:5]
	v_pk_add_f32 v[8:9], v[10:11], v[54:55]
	s_mov_b32 s18, s2
	s_mov_b32 s19, s6
	v_pk_mul_f32 v[6:7], v[6:7], s[6:7] op_sel_hi:[0,1]
	v_pk_fma_f32 v[0:1], v[8:9], 0.5, v[0:1] op_sel_hi:[1,0,1] neg_lo:[1,0,0] neg_hi:[1,0,0]
	v_pk_fma_f32 v[8:9], v[28:29], s[18:19], v[6:7] neg_lo:[0,0,1] neg_hi:[0,0,1]
	v_pk_fma_f32 v[6:7], v[28:29], s[18:19], v[6:7] op_sel_hi:[0,1,1]
	v_mov_b32_e32 v9, v7
	v_pk_mul_f32 v[6:7], v[36:37], s[6:7] op_sel_hi:[1,0]
	v_pk_mul_f32 v[10:11], v[26:27], s[16:17] op_sel_hi:[1,0]
	v_pk_add_f32 v[12:13], v[0:1], v[6:7] op_sel:[0,1] op_sel_hi:[1,0]
	v_pk_add_f32 v[0:1], v[0:1], v[6:7] op_sel:[0,1] op_sel_hi:[1,0] neg_lo:[0,1] neg_hi:[0,1]
	v_pk_add_f32 v[6:7], v[12:13], v[10:11] op_sel:[0,1] op_sel_hi:[1,0] neg_lo:[0,1] neg_hi:[0,1]
	v_pk_add_f32 v[0:1], v[0:1], v[10:11] op_sel:[0,1] op_sel_hi:[1,0]
	v_mov_b32_e32 v10, v6
	v_mov_b32_e32 v11, v1
	s_mov_b32 s16, 0xbe9e377a
	s_mov_b32 s17, s6
	v_pk_mul_f32 v[20:21], v[20:21], s[6:7] op_sel_hi:[0,1]
	v_mov_b32_e32 v1, v7
	v_pk_fma_f32 v[10:11], v[4:5], s[2:3], v[10:11] op_sel_hi:[1,0,1]
	v_pk_fma_f32 v[20:21], v[30:31], s[16:17], v[20:21] op_sel_hi:[0,1,1] neg_lo:[0,0,1] neg_hi:[0,0,1]
	v_pk_fma_f32 v[0:1], v[4:5], s[2:3], v[0:1] op_sel_hi:[1,0,1]
	v_pk_add_f32 v[12:13], v[10:11], v[8:9]
	v_pk_add_f32 v[4:5], v[0:1], v[20:21]
	ds_write2_b64 v56, v[12:13], v[4:5] offset0:160 offset1:240
	s_mov_b32 s6, 0xbf4f1bbd
	s_mov_b32 s7, s3
	v_pk_mul_f32 v[4:5], v[16:17], s[20:21] op_sel_hi:[0,1]
	v_mov_b32_e32 v25, v35
	v_pk_fma_f32 v[2:3], v[2:3], s[6:7], v[4:5] op_sel_hi:[0,1,1] neg_lo:[0,0,1] neg_hi:[0,0,1]
	v_pk_fma_f32 v[4:5], v[40:41], s[2:3], v[24:25] op_sel_hi:[1,0,1]
	v_pk_add_f32 v[12:13], v[14:15], v[18:19] neg_lo:[0,1] neg_hi:[0,1]
	v_pk_add_f32 v[6:7], v[4:5], v[2:3]
	v_add_u32_e32 v14, 0x800, v56
	ds_write2_b64 v14, v[6:7], v[12:13] offset0:64 offset1:144
	v_pk_add_f32 v[6:7], v[38:39], v[42:43] neg_lo:[0,1] neg_hi:[0,1]
	v_pk_add_f32 v[8:9], v[10:11], v[8:9] neg_lo:[0,1] neg_hi:[0,1]
	v_add_u32_e32 v10, 0xc00, v56
	v_pk_add_f32 v[0:1], v[0:1], v[20:21] neg_lo:[0,1] neg_hi:[0,1]
	v_pk_add_f32 v[2:3], v[4:5], v[2:3] neg_lo:[0,1] neg_hi:[0,1]
	v_add_u32_e32 v4, 0x1000, v56
	ds_write2_b64 v10, v[6:7], v[8:9] offset0:96 offset1:176
	ds_write2_b64 v4, v[0:1], v[2:3] offset0:128 offset1:208
.LBB0_21:
	s_or_b64 exec, exec, s[0:1]
	s_waitcnt lgkmcnt(0)
	s_barrier
	s_and_b64 exec, exec, s[4:5]
	s_cbranch_execz .LBB0_23
; %bb.22:
	global_load_dwordx2 v[8:9], v56, s[12:13]
	global_load_dwordx2 v[10:11], v56, s[12:13] offset:400
	global_load_dwordx2 v[12:13], v56, s[12:13] offset:800
	;; [unrolled: 1-line block ×5, first 2 shown]
	v_mad_u64_u32 v[26:27], s[2:3], s8, v59, 0
	v_mov_b32_e32 v34, v27
	v_mad_u64_u32 v[34:35], s[4:5], s9, v59, v[34:35]
	v_mov_b32_e32 v27, v34
	global_load_dwordx2 v[34:35], v56, s[12:13] offset:2400
	ds_read_b64 v[24:25], v56
	ds_read_b64 v[28:29], v56 offset:6000
	ds_read2_b64 v[4:7], v56 offset0:50 offset1:100
	ds_read2_b64 v[0:3], v56 offset0:150 offset1:200
	v_mad_u64_u32 v[22:23], s[0:1], s10, v58, 0
	s_mov_b32 s0, 0x47ae147b
	s_mov_b32 s1, 0x3f547ae1
	v_mov_b32_e32 v30, v23
	v_mad_u64_u32 v[30:31], s[4:5], s11, v58, v[30:31]
	v_mov_b32_e32 v20, s14
	v_mov_b32_e32 v21, s15
	v_mov_b32_e32 v23, v30
	v_lshl_add_u64 v[20:21], v[22:23], 3, v[20:21]
	v_mov_b32_e32 v38, 0x190
	v_lshl_add_u64 v[20:21], v[26:27], 3, v[20:21]
	s_mul_i32 s2, s9, 0x190
	v_mad_u64_u32 v[22:23], s[4:5], s8, v38, v[20:21]
	v_add_u32_e32 v23, s2, v23
	v_mad_u64_u32 v[26:27], s[4:5], s8, v38, v[22:23]
	v_add_u32_e32 v27, s2, v27
	;; [unrolled: 2-line block ×3, first 2 shown]
	v_mov_b32_e32 v57, 0
	v_lshl_add_u64 v[32:33], s[12:13], 0, v[56:57]
	s_movk_i32 s3, 0x1000
	s_waitcnt vmcnt(6) lgkmcnt(3)
	v_mul_f32_e32 v36, v25, v9
	v_mul_f32_e32 v9, v24, v9
	s_waitcnt vmcnt(4) lgkmcnt(1)
	v_mul_f32_e32 v39, v7, v13
	v_mul_f32_e32 v13, v6, v13
	v_fmac_f32_e32 v36, v24, v8
	v_fmac_f32_e32 v39, v6, v12
	v_fma_f32 v24, v12, v7, -v13
	global_load_dwordx2 v[12:13], v56, s[12:13] offset:2800
	v_mul_f32_e32 v37, v5, v11
	v_mul_f32_e32 v11, v4, v11
	s_waitcnt vmcnt(4) lgkmcnt(0)
	v_mul_f32_e32 v40, v1, v19
	v_mul_f32_e32 v19, v0, v19
	v_fma_f32 v8, v8, v25, -v9
	v_fmac_f32_e32 v37, v4, v10
	v_fma_f32 v9, v10, v5, -v11
	v_fmac_f32_e32 v40, v0, v18
	v_fma_f32 v41, v18, v1, -v19
	v_cvt_f64_f32_e32 v[0:1], v36
	v_cvt_f64_f32_e32 v[4:5], v8
	v_mul_f64 v[0:1], v[0:1], s[0:1]
	v_mul_f64 v[4:5], v[4:5], s[0:1]
	v_cvt_f32_f64_e32 v0, v[0:1]
	v_cvt_f32_f64_e32 v1, v[4:5]
	global_load_dwordx2 v[4:5], v56, s[12:13] offset:3200
	v_cvt_f64_f32_e32 v[6:7], v37
	v_cvt_f64_f32_e32 v[8:9], v9
	;; [unrolled: 1-line block ×4, first 2 shown]
	v_mul_f64 v[6:7], v[6:7], s[0:1]
	v_mul_f64 v[8:9], v[8:9], s[0:1]
	;; [unrolled: 1-line block ×4, first 2 shown]
	v_cvt_f32_f64_e32 v6, v[6:7]
	v_cvt_f32_f64_e32 v7, v[8:9]
	;; [unrolled: 1-line block ×4, first 2 shown]
	global_store_dwordx2 v[20:21], v[0:1], off
	global_store_dwordx2 v[22:23], v[6:7], off
	global_store_dwordx2 v[26:27], v[8:9], off
	s_waitcnt vmcnt(7)
	v_mul_f32_e32 v0, v3, v15
	v_fmac_f32_e32 v0, v2, v14
	v_cvt_f64_f32_e32 v[0:1], v0
	v_mul_f64 v[0:1], v[0:1], s[0:1]
	v_cvt_f64_f32_e32 v[24:25], v40
	v_cvt_f64_f32_e32 v[36:37], v41
	global_load_dwordx2 v[6:7], v56, s[12:13] offset:3600
	v_cvt_f32_f64_e32 v8, v[0:1]
	v_mul_f32_e32 v0, v2, v15
	v_mul_f64 v[24:25], v[24:25], s[0:1]
	v_mul_f64 v[36:37], v[36:37], s[0:1]
	v_fma_f32 v0, v14, v3, -v0
	v_cvt_f32_f64_e32 v10, v[24:25]
	v_cvt_f32_f64_e32 v11, v[36:37]
	v_cvt_f64_f32_e32 v[0:1], v0
	global_store_dwordx2 v[30:31], v[10:11], off
	v_mul_f64 v[0:1], v[0:1], s[0:1]
	v_mad_u64_u32 v[10:11], s[4:5], s8, v38, v[30:31]
	v_cvt_f32_f64_e32 v9, v[0:1]
	v_add_u32_e32 v11, s2, v11
	global_store_dwordx2 v[10:11], v[8:9], off
	global_load_dwordx2 v[8:9], v56, s[12:13] offset:4000
	v_add_u32_e32 v0, 0x400, v56
	ds_read2_b64 v[0:3], v0 offset0:122 offset1:172
	v_mad_u64_u32 v[10:11], s[4:5], s8, v38, v[10:11]
	v_add_u32_e32 v11, s2, v11
	v_add_u32_e32 v20, 0x800, v56
	s_waitcnt vmcnt(10) lgkmcnt(0)
	v_mul_f32_e32 v14, v1, v17
	v_fmac_f32_e32 v14, v0, v16
	v_mul_f32_e32 v0, v0, v17
	v_fma_f32 v0, v16, v1, -v0
	v_add_co_u32_e32 v16, vcc, s3, v32
	v_cvt_f64_f32_e32 v[14:15], v14
	s_nop 0
	v_addc_co_u32_e32 v17, vcc, 0, v33, vcc
	global_load_dwordx2 v[18:19], v[16:17], off offset:304
	v_cvt_f64_f32_e32 v[0:1], v0
	v_mul_f64 v[14:15], v[14:15], s[0:1]
	v_mul_f64 v[0:1], v[0:1], s[0:1]
	v_cvt_f32_f64_e32 v14, v[14:15]
	v_cvt_f32_f64_e32 v15, v[0:1]
	s_waitcnt vmcnt(10)
	v_mul_f32_e32 v0, v3, v35
	v_fmac_f32_e32 v0, v2, v34
	v_cvt_f64_f32_e32 v[0:1], v0
	v_mul_f64 v[0:1], v[0:1], s[0:1]
	global_store_dwordx2 v[10:11], v[14:15], off
	v_cvt_f32_f64_e32 v14, v[0:1]
	v_mul_f32_e32 v0, v2, v35
	v_fma_f32 v0, v34, v3, -v0
	v_cvt_f64_f32_e32 v[0:1], v0
	v_mul_f64 v[0:1], v[0:1], s[0:1]
	v_cvt_f32_f64_e32 v15, v[0:1]
	ds_read2_b64 v[0:3], v20 offset0:94 offset1:144
	v_mad_u64_u32 v[10:11], s[4:5], s8, v38, v[10:11]
	v_add_u32_e32 v11, s2, v11
	global_store_dwordx2 v[10:11], v[14:15], off
	s_waitcnt vmcnt(11) lgkmcnt(0)
	v_mul_f32_e32 v14, v1, v13
	v_fmac_f32_e32 v14, v0, v12
	v_mul_f32_e32 v0, v0, v13
	v_fma_f32 v0, v12, v1, -v0
	v_cvt_f64_f32_e32 v[14:15], v14
	v_cvt_f64_f32_e32 v[0:1], v0
	v_mul_f64 v[14:15], v[14:15], s[0:1]
	v_mul_f64 v[0:1], v[0:1], s[0:1]
	v_cvt_f32_f64_e32 v14, v[14:15]
	v_cvt_f32_f64_e32 v15, v[0:1]
	s_waitcnt vmcnt(10)
	v_mul_f32_e32 v0, v3, v5
	v_fmac_f32_e32 v0, v2, v4
	v_cvt_f64_f32_e32 v[0:1], v0
	v_mul_f64 v[0:1], v[0:1], s[0:1]
	v_cvt_f32_f64_e32 v12, v[0:1]
	v_mul_f32_e32 v0, v2, v5
	v_fma_f32 v0, v4, v3, -v0
	v_cvt_f64_f32_e32 v[0:1], v0
	v_mul_f64 v[0:1], v[0:1], s[0:1]
	v_cvt_f32_f64_e32 v13, v[0:1]
	ds_read2_b64 v[0:3], v20 offset0:194 offset1:244
	v_mad_u64_u32 v[10:11], s[4:5], s8, v38, v[10:11]
	v_add_u32_e32 v11, s2, v11
	global_store_dwordx2 v[10:11], v[14:15], off
	v_mad_u64_u32 v[4:5], s[4:5], s8, v38, v[10:11]
	s_waitcnt vmcnt(7) lgkmcnt(0)
	v_mul_f32_e32 v10, v1, v7
	v_fmac_f32_e32 v10, v0, v6
	v_mul_f32_e32 v0, v0, v7
	v_fma_f32 v0, v6, v1, -v0
	v_cvt_f64_f32_e32 v[10:11], v10
	v_cvt_f64_f32_e32 v[0:1], v0
	v_mul_f64 v[10:11], v[10:11], s[0:1]
	v_mul_f64 v[0:1], v[0:1], s[0:1]
	v_cvt_f32_f64_e32 v10, v[10:11]
	v_cvt_f32_f64_e32 v11, v[0:1]
	v_add_u32_e32 v5, s2, v5
	global_store_dwordx2 v[4:5], v[12:13], off
	v_mad_u64_u32 v[4:5], s[4:5], s8, v38, v[4:5]
	v_add_u32_e32 v5, s2, v5
	s_waitcnt vmcnt(5)
	v_mul_f32_e32 v0, v3, v9
	v_fmac_f32_e32 v0, v2, v8
	v_cvt_f64_f32_e32 v[0:1], v0
	v_mul_f64 v[0:1], v[0:1], s[0:1]
	v_cvt_f32_f64_e32 v6, v[0:1]
	v_mul_f32_e32 v0, v2, v9
	v_fma_f32 v0, v8, v3, -v0
	v_cvt_f64_f32_e32 v[0:1], v0
	v_mul_f64 v[0:1], v[0:1], s[0:1]
	v_add_u32_e32 v8, 0x1000, v56
	v_cvt_f32_f64_e32 v7, v[0:1]
	ds_read2_b64 v[0:3], v8 offset0:38 offset1:88
	global_store_dwordx2 v[4:5], v[10:11], off
	v_mad_u64_u32 v[4:5], s[4:5], s8, v38, v[4:5]
	v_add_u32_e32 v5, s2, v5
	global_store_dwordx2 v[4:5], v[6:7], off
	s_waitcnt vmcnt(6) lgkmcnt(0)
	v_mul_f32_e32 v6, v1, v19
	v_fmac_f32_e32 v6, v0, v18
	v_mul_f32_e32 v0, v0, v19
	v_fma_f32 v0, v18, v1, -v0
	v_cvt_f64_f32_e32 v[6:7], v6
	v_cvt_f64_f32_e32 v[0:1], v0
	v_mul_f64 v[6:7], v[6:7], s[0:1]
	v_mul_f64 v[0:1], v[0:1], s[0:1]
	v_cvt_f32_f64_e32 v6, v[6:7]
	v_cvt_f32_f64_e32 v7, v[0:1]
	v_mad_u64_u32 v[0:1], s[4:5], s8, v38, v[4:5]
	v_add_u32_e32 v1, s2, v1
	global_store_dwordx2 v[0:1], v[6:7], off
	global_load_dwordx2 v[4:5], v[16:17], off offset:704
	s_waitcnt vmcnt(0)
	v_mul_f32_e32 v6, v3, v5
	v_fmac_f32_e32 v6, v2, v4
	v_mul_f32_e32 v2, v2, v5
	v_fma_f32 v2, v4, v3, -v2
	v_cvt_f64_f32_e32 v[6:7], v6
	v_cvt_f64_f32_e32 v[2:3], v2
	v_mul_f64 v[6:7], v[6:7], s[0:1]
	v_mul_f64 v[2:3], v[2:3], s[0:1]
	v_mad_u64_u32 v[4:5], s[4:5], s8, v38, v[0:1]
	v_cvt_f32_f64_e32 v6, v[6:7]
	v_cvt_f32_f64_e32 v7, v[2:3]
	v_add_u32_e32 v5, s2, v5
	global_store_dwordx2 v[4:5], v[6:7], off
	global_load_dwordx2 v[6:7], v[16:17], off offset:1104
	ds_read2_b64 v[0:3], v8 offset0:138 offset1:188
	v_mad_u64_u32 v[4:5], s[4:5], s8, v38, v[4:5]
	v_add_u32_e32 v5, s2, v5
	s_waitcnt vmcnt(0) lgkmcnt(0)
	v_mul_f32_e32 v8, v1, v7
	v_mul_f32_e32 v7, v0, v7
	v_fmac_f32_e32 v8, v0, v6
	v_fma_f32 v6, v6, v1, -v7
	v_cvt_f64_f32_e32 v[0:1], v8
	v_cvt_f64_f32_e32 v[6:7], v6
	v_mul_f64 v[0:1], v[0:1], s[0:1]
	v_mul_f64 v[6:7], v[6:7], s[0:1]
	v_cvt_f32_f64_e32 v0, v[0:1]
	v_cvt_f32_f64_e32 v1, v[6:7]
	global_store_dwordx2 v[4:5], v[0:1], off
	global_load_dwordx2 v[0:1], v[16:17], off offset:1504
	v_mad_u64_u32 v[4:5], s[4:5], s8, v38, v[4:5]
	v_add_u32_e32 v5, s2, v5
	s_waitcnt vmcnt(0)
	v_mul_f32_e32 v6, v3, v1
	v_mul_f32_e32 v1, v2, v1
	v_fmac_f32_e32 v6, v2, v0
	v_fma_f32 v2, v0, v3, -v1
	v_cvt_f64_f32_e32 v[0:1], v6
	v_cvt_f64_f32_e32 v[2:3], v2
	v_mul_f64 v[0:1], v[0:1], s[0:1]
	v_mul_f64 v[2:3], v[2:3], s[0:1]
	v_cvt_f32_f64_e32 v0, v[0:1]
	v_cvt_f32_f64_e32 v1, v[2:3]
	global_store_dwordx2 v[4:5], v[0:1], off
	global_load_dwordx2 v[0:1], v[16:17], off offset:1904
	v_mad_u64_u32 v[2:3], s[4:5], s8, v38, v[4:5]
	v_add_u32_e32 v3, s2, v3
	s_waitcnt vmcnt(0)
	v_mul_f32_e32 v4, v29, v1
	v_mul_f32_e32 v1, v28, v1
	v_fmac_f32_e32 v4, v28, v0
	v_fma_f32 v5, v0, v29, -v1
	v_cvt_f64_f32_e32 v[0:1], v4
	v_cvt_f64_f32_e32 v[4:5], v5
	v_mul_f64 v[0:1], v[0:1], s[0:1]
	v_mul_f64 v[4:5], v[4:5], s[0:1]
	v_cvt_f32_f64_e32 v0, v[0:1]
	v_cvt_f32_f64_e32 v1, v[4:5]
	global_store_dwordx2 v[2:3], v[0:1], off
.LBB0_23:
	s_endpgm
	.section	.rodata,"a",@progbits
	.p2align	6, 0x0
	.amdhsa_kernel bluestein_single_fwd_len800_dim1_sp_op_CI_CI
		.amdhsa_group_segment_fixed_size 6400
		.amdhsa_private_segment_fixed_size 0
		.amdhsa_kernarg_size 104
		.amdhsa_user_sgpr_count 2
		.amdhsa_user_sgpr_dispatch_ptr 0
		.amdhsa_user_sgpr_queue_ptr 0
		.amdhsa_user_sgpr_kernarg_segment_ptr 1
		.amdhsa_user_sgpr_dispatch_id 0
		.amdhsa_user_sgpr_kernarg_preload_length 0
		.amdhsa_user_sgpr_kernarg_preload_offset 0
		.amdhsa_user_sgpr_private_segment_size 0
		.amdhsa_uses_dynamic_stack 0
		.amdhsa_enable_private_segment 0
		.amdhsa_system_sgpr_workgroup_id_x 1
		.amdhsa_system_sgpr_workgroup_id_y 0
		.amdhsa_system_sgpr_workgroup_id_z 0
		.amdhsa_system_sgpr_workgroup_info 0
		.amdhsa_system_vgpr_workitem_id 0
		.amdhsa_next_free_vgpr 96
		.amdhsa_next_free_sgpr 22
		.amdhsa_accum_offset 96
		.amdhsa_reserve_vcc 1
		.amdhsa_float_round_mode_32 0
		.amdhsa_float_round_mode_16_64 0
		.amdhsa_float_denorm_mode_32 3
		.amdhsa_float_denorm_mode_16_64 3
		.amdhsa_dx10_clamp 1
		.amdhsa_ieee_mode 1
		.amdhsa_fp16_overflow 0
		.amdhsa_tg_split 0
		.amdhsa_exception_fp_ieee_invalid_op 0
		.amdhsa_exception_fp_denorm_src 0
		.amdhsa_exception_fp_ieee_div_zero 0
		.amdhsa_exception_fp_ieee_overflow 0
		.amdhsa_exception_fp_ieee_underflow 0
		.amdhsa_exception_fp_ieee_inexact 0
		.amdhsa_exception_int_div_zero 0
	.end_amdhsa_kernel
	.text
.Lfunc_end0:
	.size	bluestein_single_fwd_len800_dim1_sp_op_CI_CI, .Lfunc_end0-bluestein_single_fwd_len800_dim1_sp_op_CI_CI
                                        ; -- End function
	.section	.AMDGPU.csdata,"",@progbits
; Kernel info:
; codeLenInByte = 9984
; NumSgprs: 28
; NumVgprs: 96
; NumAgprs: 0
; TotalNumVgprs: 96
; ScratchSize: 0
; MemoryBound: 0
; FloatMode: 240
; IeeeMode: 1
; LDSByteSize: 6400 bytes/workgroup (compile time only)
; SGPRBlocks: 3
; VGPRBlocks: 11
; NumSGPRsForWavesPerEU: 28
; NumVGPRsForWavesPerEU: 96
; AccumOffset: 96
; Occupancy: 5
; WaveLimiterHint : 1
; COMPUTE_PGM_RSRC2:SCRATCH_EN: 0
; COMPUTE_PGM_RSRC2:USER_SGPR: 2
; COMPUTE_PGM_RSRC2:TRAP_HANDLER: 0
; COMPUTE_PGM_RSRC2:TGID_X_EN: 1
; COMPUTE_PGM_RSRC2:TGID_Y_EN: 0
; COMPUTE_PGM_RSRC2:TGID_Z_EN: 0
; COMPUTE_PGM_RSRC2:TIDIG_COMP_CNT: 0
; COMPUTE_PGM_RSRC3_GFX90A:ACCUM_OFFSET: 23
; COMPUTE_PGM_RSRC3_GFX90A:TG_SPLIT: 0
	.text
	.p2alignl 6, 3212836864
	.fill 256, 4, 3212836864
	.type	__hip_cuid_58c7c8e7d3877a99,@object ; @__hip_cuid_58c7c8e7d3877a99
	.section	.bss,"aw",@nobits
	.globl	__hip_cuid_58c7c8e7d3877a99
__hip_cuid_58c7c8e7d3877a99:
	.byte	0                               ; 0x0
	.size	__hip_cuid_58c7c8e7d3877a99, 1

	.ident	"AMD clang version 19.0.0git (https://github.com/RadeonOpenCompute/llvm-project roc-6.4.0 25133 c7fe45cf4b819c5991fe208aaa96edf142730f1d)"
	.section	".note.GNU-stack","",@progbits
	.addrsig
	.addrsig_sym __hip_cuid_58c7c8e7d3877a99
	.amdgpu_metadata
---
amdhsa.kernels:
  - .agpr_count:     0
    .args:
      - .actual_access:  read_only
        .address_space:  global
        .offset:         0
        .size:           8
        .value_kind:     global_buffer
      - .actual_access:  read_only
        .address_space:  global
        .offset:         8
        .size:           8
        .value_kind:     global_buffer
      - .actual_access:  read_only
        .address_space:  global
        .offset:         16
        .size:           8
        .value_kind:     global_buffer
      - .actual_access:  read_only
        .address_space:  global
        .offset:         24
        .size:           8
        .value_kind:     global_buffer
      - .actual_access:  read_only
        .address_space:  global
        .offset:         32
        .size:           8
        .value_kind:     global_buffer
      - .offset:         40
        .size:           8
        .value_kind:     by_value
      - .address_space:  global
        .offset:         48
        .size:           8
        .value_kind:     global_buffer
      - .address_space:  global
        .offset:         56
        .size:           8
        .value_kind:     global_buffer
      - .address_space:  global
        .offset:         64
        .size:           8
        .value_kind:     global_buffer
      - .address_space:  global
        .offset:         72
        .size:           8
        .value_kind:     global_buffer
      - .offset:         80
        .size:           4
        .value_kind:     by_value
      - .address_space:  global
        .offset:         88
        .size:           8
        .value_kind:     global_buffer
      - .address_space:  global
        .offset:         96
        .size:           8
        .value_kind:     global_buffer
    .group_segment_fixed_size: 6400
    .kernarg_segment_align: 8
    .kernarg_segment_size: 104
    .language:       OpenCL C
    .language_version:
      - 2
      - 0
    .max_flat_workgroup_size: 160
    .name:           bluestein_single_fwd_len800_dim1_sp_op_CI_CI
    .private_segment_fixed_size: 0
    .sgpr_count:     28
    .sgpr_spill_count: 0
    .symbol:         bluestein_single_fwd_len800_dim1_sp_op_CI_CI.kd
    .uniform_work_group_size: 1
    .uses_dynamic_stack: false
    .vgpr_count:     96
    .vgpr_spill_count: 0
    .wavefront_size: 64
amdhsa.target:   amdgcn-amd-amdhsa--gfx950
amdhsa.version:
  - 1
  - 2
...

	.end_amdgpu_metadata
